;; amdgpu-corpus repo=ROCm/rocFFT kind=compiled arch=gfx950 opt=O3
	.text
	.amdgcn_target "amdgcn-amd-amdhsa--gfx950"
	.amdhsa_code_object_version 6
	.protected	bluestein_single_fwd_len1071_dim1_dp_op_CI_CI ; -- Begin function bluestein_single_fwd_len1071_dim1_dp_op_CI_CI
	.globl	bluestein_single_fwd_len1071_dim1_dp_op_CI_CI
	.p2align	8
	.type	bluestein_single_fwd_len1071_dim1_dp_op_CI_CI,@function
bluestein_single_fwd_len1071_dim1_dp_op_CI_CI: ; @bluestein_single_fwd_len1071_dim1_dp_op_CI_CI
; %bb.0:
	s_load_dwordx4 s[4:7], s[0:1], 0x28
	v_mul_u32_u24_e32 v1, 0x227, v0
	v_add_u32_sdwa v2, s2, v1 dst_sel:DWORD dst_unused:UNUSED_PAD src0_sel:DWORD src1_sel:WORD_1
	v_mov_b32_e32 v3, 0
	v_accvgpr_write_b32 a0, v2
	s_waitcnt lgkmcnt(0)
	v_cmp_gt_u64_e32 vcc, s[4:5], v[2:3]
	s_and_saveexec_b64 s[2:3], vcc
	s_cbranch_execz .LBB0_23
; %bb.1:
	s_load_dwordx2 s[12:13], s[0:1], 0x0
	s_load_dwordx2 s[14:15], s[0:1], 0x38
	s_movk_i32 s2, 0x77
	v_mul_lo_u16_sdwa v1, v1, s2 dst_sel:DWORD dst_unused:UNUSED_PAD src0_sel:WORD_1 src1_sel:DWORD
	v_sub_u16_e32 v201, v0, v1
	v_cmp_gt_u16_e64 s[4:5], 63, v201
	v_lshlrev_b32_e32 v200, 4, v201
	s_and_saveexec_b64 s[2:3], s[4:5]
	s_cbranch_execz .LBB0_3
; %bb.2:
	s_load_dwordx2 s[8:9], s[0:1], 0x18
	v_accvgpr_read_b32 v10, a0
	v_mov_b32_e32 v0, s6
	v_mov_b32_e32 v1, s7
	;; [unrolled: 1-line block ×3, first 2 shown]
	s_waitcnt lgkmcnt(0)
	s_load_dwordx4 s[8:11], s[8:9], 0x0
	v_mov_b32_e32 v44, 0x3f0
	s_waitcnt lgkmcnt(0)
	v_mad_u64_u32 v[2:3], s[6:7], s10, v10, 0
	v_mad_u64_u32 v[4:5], s[6:7], s8, v201, 0
	v_mov_b32_e32 v6, v3
	v_mov_b32_e32 v8, v5
	v_mad_u64_u32 v[6:7], s[6:7], s11, v10, v[6:7]
	v_mov_b32_e32 v3, v6
	v_mad_u64_u32 v[6:7], s[6:7], s9, v201, v[8:9]
	v_mov_b32_e32 v5, v6
	v_lshl_add_u64 v[0:1], v[2:3], 4, v[0:1]
	v_mov_b32_e32 v201, 0
	v_lshl_add_u64 v[24:25], v[4:5], 4, v[0:1]
	s_movk_i32 s6, 0x1000
	v_lshl_add_u64 v[108:109], s[12:13], 0, v[200:201]
	v_add_co_u32_e32 v40, vcc, s6, v108
	s_mul_i32 s6, s9, 0x3f0
	v_mad_u64_u32 v[42:43], s[10:11], s8, v44, v[24:25]
	global_load_dwordx4 v[0:3], v[24:25], off
	global_load_dwordx4 v[4:7], v200, s[12:13]
	v_addc_co_u32_e32 v41, vcc, 0, v109, vcc
	v_add_u32_e32 v43, s6, v43
	global_load_dwordx4 v[8:11], v200, s[12:13] offset:1008
	global_load_dwordx4 v[12:15], v200, s[12:13] offset:2016
	;; [unrolled: 1-line block ×4, first 2 shown]
	v_mov_b32_e32 v201, v26
	global_load_dwordx4 v[36:39], v[40:41], off offset:944
	global_load_dwordx4 v[28:31], v[40:41], off offset:1952
	global_load_dwordx4 v[46:49], v[42:43], off
	global_load_dwordx4 v[32:35], v[40:41], off offset:2960
	global_load_dwordx4 v[24:27], v[40:41], off offset:3968
	v_mad_u64_u32 v[40:41], s[10:11], s8, v44, v[42:43]
	v_add_u32_e32 v41, s6, v41
	global_load_dwordx4 v[50:53], v[40:41], off
	v_mad_u64_u32 v[62:63], s[10:11], s8, v44, v[40:41]
	v_add_u32_e32 v63, s6, v63
	s_movk_i32 s7, 0x2000
	v_mad_u64_u32 v[66:67], s[10:11], s8, v44, v[62:63]
	v_add_co_u32_e32 v78, vcc, s7, v108
	v_add_u32_e32 v67, s6, v67
	s_nop 0
	v_addc_co_u32_e32 v79, vcc, 0, v109, vcc
	global_load_dwordx4 v[54:57], v[62:63], off
	global_load_dwordx4 v[58:61], v[78:79], off offset:880
	global_load_dwordx4 v[40:43], v[78:79], off offset:1888
	v_mad_u64_u32 v[80:81], s[10:11], s8, v44, v[66:67]
	global_load_dwordx4 v[62:65], v[66:67], off
	v_add_u32_e32 v81, s6, v81
	v_mad_u64_u32 v[82:83], s[10:11], s8, v44, v[80:81]
	v_add_u32_e32 v83, s6, v83
	global_load_dwordx4 v[66:69], v[80:81], off
	global_load_dwordx4 v[70:73], v[78:79], off offset:2896
	global_load_dwordx4 v[74:77], v[78:79], off offset:3904
	v_mad_u64_u32 v[86:87], s[10:11], s8, v44, v[82:83]
	global_load_dwordx4 v[78:81], v[82:83], off
	v_add_u32_e32 v87, s6, v87
	global_load_dwordx4 v[82:85], v[86:87], off
	v_mad_u64_u32 v[90:91], s[10:11], s8, v44, v[86:87]
	v_add_u32_e32 v91, s6, v91
	global_load_dwordx4 v[86:89], v[90:91], off
	v_mad_u64_u32 v[94:95], s[10:11], s8, v44, v[90:91]
	;; [unrolled: 3-line block ×5, first 2 shown]
	v_add_u32_e32 v107, s6, v107
	s_movk_i32 s7, 0x3000
	global_load_dwordx4 v[102:105], v[106:107], off
	v_mad_u64_u32 v[118:119], s[10:11], s8, v44, v[106:107]
	v_add_co_u32_e32 v108, vcc, s7, v108
	v_add_u32_e32 v119, s6, v119
	s_nop 0
	v_addc_co_u32_e32 v109, vcc, 0, v109, vcc
	global_load_dwordx4 v[110:113], v[118:119], off
	global_load_dwordx4 v[114:117], v[108:109], off offset:816
	v_mad_u64_u32 v[126:127], s[10:11], s8, v44, v[118:119]
	v_add_u32_e32 v127, s6, v127
	global_load_dwordx4 v[118:121], v[126:127], off
	global_load_dwordx4 v[122:125], v[108:109], off offset:1824
	v_mad_u64_u32 v[134:135], s[10:11], s8, v44, v[126:127]
	v_add_u32_e32 v135, s6, v135
	;; [unrolled: 4-line block ×3, first 2 shown]
	global_load_dwordx4 v[134:137], v[44:45], off
	global_load_dwordx4 v[138:141], v[108:109], off offset:3840
	s_waitcnt vmcnt(32)
	v_mul_f64 v[106:107], v[2:3], v[6:7]
	v_mul_f64 v[6:7], v[0:1], v[6:7]
	v_fmac_f64_e32 v[106:107], v[0:1], v[4:5]
	v_fma_f64 v[108:109], v[2:3], v[4:5], -v[6:7]
	ds_write_b128 v200, v[106:109]
	s_waitcnt vmcnt(25)
	v_mul_f64 v[0:1], v[48:49], v[10:11]
	v_mul_f64 v[2:3], v[46:47], v[10:11]
	v_fmac_f64_e32 v[0:1], v[46:47], v[8:9]
	v_fma_f64 v[2:3], v[48:49], v[8:9], -v[2:3]
	ds_write_b128 v200, v[0:3] offset:1008
	s_waitcnt vmcnt(22)
	v_mul_f64 v[0:1], v[52:53], v[14:15]
	v_mul_f64 v[2:3], v[50:51], v[14:15]
	v_fmac_f64_e32 v[0:1], v[50:51], v[12:13]
	v_fma_f64 v[2:3], v[52:53], v[12:13], -v[2:3]
	ds_write_b128 v200, v[0:3] offset:2016
	;; [unrolled: 6-line block ×16, first 2 shown]
.LBB0_3:
	s_or_b64 exec, exec, s[2:3]
	s_waitcnt lgkmcnt(0)
	s_barrier
	s_waitcnt lgkmcnt(0)
                                        ; implicit-def: $vgpr12_vgpr13
                                        ; implicit-def: $vgpr16_vgpr17
                                        ; implicit-def: $vgpr20_vgpr21
                                        ; implicit-def: $vgpr24_vgpr25
                                        ; implicit-def: $vgpr28_vgpr29
                                        ; implicit-def: $vgpr32_vgpr33
                                        ; implicit-def: $vgpr36_vgpr37
                                        ; implicit-def: $vgpr40_vgpr41
                                        ; implicit-def: $vgpr44_vgpr45
                                        ; implicit-def: $vgpr48_vgpr49
                                        ; implicit-def: $vgpr52_vgpr53
                                        ; implicit-def: $vgpr56_vgpr57
                                        ; implicit-def: $vgpr60_vgpr61
                                        ; implicit-def: $vgpr64_vgpr65
                                        ; implicit-def: $vgpr68_vgpr69
                                        ; implicit-def: $vgpr72_vgpr73
                                        ; implicit-def: $vgpr76_vgpr77
	s_and_saveexec_b64 s[2:3], s[4:5]
	s_cbranch_execz .LBB0_5
; %bb.4:
	ds_read_b128 v[12:15], v200
	ds_read_b128 v[16:19], v200 offset:1008
	ds_read_b128 v[20:23], v200 offset:2016
	;; [unrolled: 1-line block ×16, first 2 shown]
.LBB0_5:
	s_or_b64 exec, exec, s[2:3]
	s_mov_b32 s40, 0x5d8e7cdc
	s_waitcnt lgkmcnt(0)
	v_add_f64 v[96:97], v[18:19], -v[78:79]
	s_mov_b32 s41, 0xbfd71e95
	s_mov_b32 s48, 0x2a9d6da3
	s_load_dwordx2 s[8:9], s[0:1], 0x20
	s_load_dwordx2 s[6:7], s[0:1], 0x8
	s_mov_b32 s0, 0x370991
	v_mul_f64 v[0:1], v[96:97], s[40:41]
	s_mov_b32 s49, 0xbfe58eea
	v_add_f64 v[110:111], v[22:23], -v[74:75]
	v_add_f64 v[130:131], v[16:17], v[76:77]
	v_add_f64 v[98:99], v[16:17], -v[76:77]
	s_mov_b32 s1, 0x3fedd6d0
	v_accvgpr_write_b32 a7, v1
	s_mov_b32 s20, 0x75d4884
	v_mul_f64 v[112:113], v[110:111], s[48:49]
	v_add_f64 v[132:133], v[18:19], v[78:79]
	v_mul_f64 v[2:3], v[98:99], s[40:41]
	v_accvgpr_write_b32 a6, v0
	v_fma_f64 v[0:1], s[0:1], v[130:131], v[0:1]
	s_mov_b32 s21, 0x3fe7a5f6
	v_add_f64 v[146:147], v[20:21], v[72:73]
	v_add_f64 v[108:109], v[20:21], -v[72:73]
	v_accvgpr_write_b32 a20, v112
	v_add_f64 v[82:83], v[12:13], v[0:1]
	v_accvgpr_write_b32 a9, v3
	v_fma_f64 v[0:1], v[132:133], s[0:1], -v[2:3]
	s_mov_b32 s42, 0xeb564b22
	v_add_f64 v[148:149], v[22:23], v[74:75]
	v_mul_f64 v[114:115], v[108:109], s[48:49]
	v_accvgpr_write_b32 a21, v113
	v_fma_f64 v[112:113], s[20:21], v[146:147], v[112:113]
	v_accvgpr_write_b32 a8, v2
	v_add_f64 v[0:1], v[14:15], v[0:1]
	v_mul_f64 v[2:3], v[96:97], s[48:49]
	s_mov_b32 s43, 0xbfefdd0d
	v_add_f64 v[82:83], v[112:113], v[82:83]
	v_fma_f64 v[112:113], v[148:149], s[20:21], -v[114:115]
	v_mul_f64 v[4:5], v[98:99], s[48:49]
	v_accvgpr_write_b32 a11, v3
	s_mov_b32 s16, 0x3259b75e
	v_add_f64 v[0:1], v[112:113], v[0:1]
	v_mul_f64 v[112:113], v[110:111], s[42:43]
	v_accvgpr_write_b32 a10, v2
	v_fma_f64 v[2:3], s[20:21], v[130:131], v[2:3]
	v_accvgpr_write_b32 a13, v5
	s_mov_b32 s36, 0x7c9e640b
	s_mov_b32 s17, 0x3fb79ee6
	v_accvgpr_write_b32 a24, v114
	v_accvgpr_write_b32 a28, v112
	v_add_f64 v[2:3], v[12:13], v[2:3]
	v_accvgpr_write_b32 a12, v4
	v_fma_f64 v[4:5], v[132:133], s[20:21], -v[4:5]
	s_mov_b32 s37, 0xbfeca52d
	s_mov_b32 s28, 0x6c9a05f6
	v_accvgpr_write_b32 a25, v115
	v_mul_f64 v[114:115], v[108:109], s[42:43]
	v_accvgpr_write_b32 a29, v113
	v_fma_f64 v[112:113], s[16:17], v[146:147], v[112:113]
	v_add_f64 v[4:5], v[14:15], v[4:5]
	s_mov_b32 s2, 0x2b2883cd
	v_mul_f64 v[6:7], v[96:97], s[36:37]
	s_mov_b32 s29, 0xbfe9895b
	v_add_f64 v[2:3], v[112:113], v[2:3]
	v_fma_f64 v[112:113], v[148:149], s[16:17], -v[114:115]
	s_mov_b32 s3, 0x3fdc86fa
	v_accvgpr_write_b32 a15, v7
	s_mov_b32 s18, 0x6ed5f1bb
	v_add_f64 v[4:5], v[112:113], v[4:5]
	v_mul_f64 v[112:113], v[110:111], s[28:29]
	v_mul_f64 v[8:9], v[98:99], s[36:37]
	v_accvgpr_write_b32 a14, v6
	v_fma_f64 v[6:7], s[2:3], v[130:131], v[6:7]
	s_mov_b32 s19, 0xbfe348c8
	v_accvgpr_write_b32 a30, v114
	v_accvgpr_write_b32 a38, v112
	v_add_f64 v[84:85], v[12:13], v[6:7]
	v_fma_f64 v[6:7], v[132:133], s[2:3], -v[8:9]
	s_mov_b32 s38, 0xacd6c6b4
	v_accvgpr_write_b32 a31, v115
	v_mul_f64 v[114:115], v[108:109], s[28:29]
	v_accvgpr_write_b32 a39, v113
	v_fma_f64 v[112:113], s[18:19], v[146:147], v[112:113]
	v_add_f64 v[86:87], v[14:15], v[6:7]
	v_mul_f64 v[6:7], v[96:97], s[42:43]
	s_mov_b32 s39, 0xbfc7851a
	v_add_f64 v[84:85], v[112:113], v[84:85]
	v_fma_f64 v[112:113], v[148:149], s[18:19], -v[114:115]
	v_accvgpr_write_b32 a17, v9
	v_accvgpr_write_b32 a19, v7
	s_mov_b32 s24, 0x7faef3
	v_add_f64 v[86:87], v[112:113], v[86:87]
	v_mul_f64 v[112:113], v[110:111], s[38:39]
	v_accvgpr_write_b32 a16, v8
	v_mul_f64 v[8:9], v[98:99], s[42:43]
	v_accvgpr_write_b32 a18, v6
	v_fma_f64 v[6:7], s[16:17], v[130:131], v[6:7]
	s_mov_b32 s26, 0x923c349f
	s_mov_b32 s25, 0xbfef7484
	v_accvgpr_write_b32 a40, v114
	v_accvgpr_write_b32 a46, v112
	v_add_f64 v[104:105], v[12:13], v[6:7]
	v_fma_f64 v[6:7], v[132:133], s[16:17], -v[8:9]
	s_mov_b32 s27, 0xbfeec746
	s_mov_b32 s34, 0x4363dd80
	v_accvgpr_write_b32 a41, v115
	v_mul_f64 v[114:115], v[108:109], s[38:39]
	v_accvgpr_write_b32 a47, v113
	v_fma_f64 v[112:113], s[24:25], v[146:147], v[112:113]
	v_accvgpr_write_b32 a23, v9
	v_add_f64 v[106:107], v[14:15], v[6:7]
	s_mov_b32 s10, 0xc61f0d01
	v_mul_f64 v[6:7], v[96:97], s[26:27]
	s_mov_b32 s35, 0xbfe0d888
	v_add_f64 v[104:105], v[112:113], v[104:105]
	v_fma_f64 v[112:113], v[148:149], s[24:25], -v[114:115]
	s_mov_b32 s53, 0x3fe0d888
	s_mov_b32 s52, s34
	v_accvgpr_write_b32 a22, v8
	s_mov_b32 s11, 0xbfd183b1
	v_mul_f64 v[8:9], v[98:99], s[26:27]
	v_accvgpr_write_b32 a27, v7
	s_mov_b32 s22, 0x910ea3b9
	v_add_f64 v[106:107], v[112:113], v[106:107]
	v_mul_f64 v[112:113], v[110:111], s[52:53]
	v_accvgpr_write_b32 a26, v6
	v_fma_f64 v[6:7], s[10:11], v[130:131], v[6:7]
	v_accvgpr_write_b32 a33, v9
	s_mov_b32 s23, 0xbfeb34fa
	v_accvgpr_write_b32 a50, v114
	v_accvgpr_write_b32 a54, v112
	v_add_f64 v[6:7], v[12:13], v[6:7]
	v_accvgpr_write_b32 a32, v8
	v_fma_f64 v[8:9], v[132:133], s[10:11], -v[8:9]
	v_accvgpr_write_b32 a51, v115
	v_mul_f64 v[114:115], v[108:109], s[52:53]
	v_accvgpr_write_b32 a55, v113
	v_fma_f64 v[112:113], s[22:23], v[146:147], v[112:113]
	v_add_f64 v[8:9], v[14:15], v[8:9]
	v_mul_f64 v[10:11], v[96:97], s[28:29]
	v_add_f64 v[6:7], v[112:113], v[6:7]
	v_fma_f64 v[112:113], v[148:149], s[22:23], -v[114:115]
	s_mov_b32 s51, 0x3feec746
	s_mov_b32 s50, s26
	v_mul_f64 v[80:81], v[98:99], s[28:29]
	v_accvgpr_write_b32 a35, v11
	v_add_f64 v[8:9], v[112:113], v[8:9]
	v_mul_f64 v[112:113], v[110:111], s[50:51]
	v_accvgpr_write_b32 a34, v10
	v_fma_f64 v[10:11], s[18:19], v[130:131], v[10:11]
	v_accvgpr_write_b32 a36, v80
	v_accvgpr_write_b32 a56, v114
	;; [unrolled: 1-line block ×3, first 2 shown]
	v_add_f64 v[10:11], v[12:13], v[10:11]
	v_accvgpr_write_b32 a37, v81
	v_fma_f64 v[80:81], v[132:133], s[18:19], -v[80:81]
	v_accvgpr_write_b32 a57, v115
	v_mul_f64 v[114:115], v[108:109], s[50:51]
	v_accvgpr_write_b32 a61, v113
	v_fma_f64 v[112:113], s[10:11], v[146:147], v[112:113]
	v_add_f64 v[80:81], v[14:15], v[80:81]
	v_mul_f64 v[92:93], v[96:97], s[34:35]
	v_add_f64 v[10:11], v[112:113], v[10:11]
	v_fma_f64 v[112:113], v[148:149], s[10:11], -v[114:115]
	s_mov_b32 s31, 0x3feca52d
	s_mov_b32 s30, s36
	v_fma_f64 v[88:89], v[130:131], s[22:23], -v[92:93]
	v_accvgpr_write_b32 a62, v114
	v_add_f64 v[80:81], v[112:113], v[80:81]
	v_mul_f64 v[112:113], v[110:111], s[30:31]
	v_add_f64 v[88:89], v[12:13], v[88:89]
	v_mul_f64 v[94:95], v[98:99], s[34:35]
	v_fmac_f64_e32 v[92:93], s[22:23], v[130:131]
	v_accvgpr_write_b32 a63, v115
	v_fma_f64 v[114:115], v[146:147], s[2:3], -v[112:113]
	v_fma_f64 v[90:91], s[22:23], v[132:133], v[94:95]
	v_add_f64 v[92:93], v[12:13], v[92:93]
	v_fma_f64 v[94:95], v[132:133], s[22:23], -v[94:95]
	v_mul_f64 v[100:101], v[96:97], s[38:39]
	v_add_f64 v[88:89], v[114:115], v[88:89]
	v_mul_f64 v[114:115], v[108:109], s[30:31]
	v_fmac_f64_e32 v[112:113], s[2:3], v[146:147]
	s_mov_b32 s47, 0x3fd71e95
	s_mov_b32 s46, s40
	v_add_f64 v[94:95], v[14:15], v[94:95]
	v_fma_f64 v[96:97], v[130:131], s[24:25], -v[100:101]
	v_mul_f64 v[102:103], v[98:99], s[38:39]
	v_fmac_f64_e32 v[100:101], s[24:25], v[130:131]
	v_add_f64 v[92:93], v[112:113], v[92:93]
	v_fma_f64 v[112:113], v[148:149], s[2:3], -v[114:115]
	v_mul_f64 v[110:111], v[110:111], s[46:47]
	v_add_f64 v[96:97], v[12:13], v[96:97]
	v_fma_f64 v[98:99], s[24:25], v[132:133], v[102:103]
	v_add_f64 v[100:101], v[12:13], v[100:101]
	v_add_f64 v[94:95], v[112:113], v[94:95]
	v_fma_f64 v[112:113], v[146:147], s[0:1], -v[110:111]
	v_mul_f64 v[108:109], v[108:109], s[46:47]
	v_fmac_f64_e32 v[110:111], s[0:1], v[146:147]
	v_add_f64 v[98:99], v[14:15], v[98:99]
	v_fma_f64 v[102:103], v[132:133], s[24:25], -v[102:103]
	v_add_f64 v[96:97], v[112:113], v[96:97]
	v_fma_f64 v[112:113], s[0:1], v[148:149], v[108:109]
	v_add_f64 v[100:101], v[110:111], v[100:101]
	v_add_f64 v[110:111], v[26:27], -v[70:71]
	v_add_f64 v[102:103], v[14:15], v[102:103]
	v_add_f64 v[98:99], v[112:113], v[98:99]
	v_fma_f64 v[108:109], v[148:149], s[0:1], -v[108:109]
	v_mul_f64 v[112:113], v[110:111], s[36:37]
	v_add_f64 v[102:103], v[108:109], v[102:103]
	v_add_f64 v[168:169], v[24:25], v[68:69]
	v_add_f64 v[108:109], v[24:25], -v[68:69]
	v_accvgpr_write_b32 a42, v112
	v_fma_f64 v[116:117], s[2:3], v[148:149], v[114:115]
	v_add_f64 v[170:171], v[26:27], v[70:71]
	v_mul_f64 v[114:115], v[108:109], s[36:37]
	v_accvgpr_write_b32 a43, v113
	v_fma_f64 v[112:113], s[2:3], v[168:169], v[112:113]
	v_add_f64 v[82:83], v[112:113], v[82:83]
	v_fma_f64 v[112:113], v[170:171], s[2:3], -v[114:115]
	v_add_f64 v[0:1], v[112:113], v[0:1]
	v_mul_f64 v[112:113], v[110:111], s[28:29]
	v_accvgpr_write_b32 a44, v114
	v_accvgpr_write_b32 a48, v112
	;; [unrolled: 1-line block ×3, first 2 shown]
	v_mul_f64 v[114:115], v[108:109], s[28:29]
	v_accvgpr_write_b32 a49, v113
	v_fma_f64 v[112:113], s[18:19], v[168:169], v[112:113]
	v_add_f64 v[2:3], v[112:113], v[2:3]
	v_fma_f64 v[112:113], v[170:171], s[18:19], -v[114:115]
	s_mov_b32 s45, 0x3fc7851a
	s_mov_b32 s44, s38
	v_add_f64 v[4:5], v[112:113], v[4:5]
	v_mul_f64 v[112:113], v[110:111], s[44:45]
	v_accvgpr_write_b32 a52, v114
	v_accvgpr_write_b32 a58, v112
	;; [unrolled: 1-line block ×3, first 2 shown]
	v_mul_f64 v[114:115], v[108:109], s[44:45]
	v_accvgpr_write_b32 a59, v113
	v_fma_f64 v[112:113], s[24:25], v[168:169], v[112:113]
	v_add_f64 v[84:85], v[112:113], v[84:85]
	v_fma_f64 v[112:113], v[170:171], s[24:25], -v[114:115]
	v_add_f64 v[86:87], v[112:113], v[86:87]
	v_mul_f64 v[112:113], v[110:111], s[50:51]
	v_accvgpr_write_b32 a66, v114
	v_accvgpr_write_b32 a70, v112
	;; [unrolled: 1-line block ×3, first 2 shown]
	v_mul_f64 v[114:115], v[108:109], s[50:51]
	v_accvgpr_write_b32 a71, v113
	v_fma_f64 v[112:113], s[10:11], v[168:169], v[112:113]
	v_add_f64 v[104:105], v[112:113], v[104:105]
	v_fma_f64 v[112:113], v[170:171], s[10:11], -v[114:115]
	s_mov_b32 s45, 0x3fe58eea
	s_mov_b32 s44, s48
	v_add_f64 v[106:107], v[112:113], v[106:107]
	v_mul_f64 v[112:113], v[110:111], s[44:45]
	v_accvgpr_write_b32 a76, v114
	v_accvgpr_write_b32 a78, v112
	v_accvgpr_write_b32 a77, v115
	v_mul_f64 v[114:115], v[108:109], s[44:45]
	v_accvgpr_write_b32 a79, v113
	v_fma_f64 v[112:113], s[20:21], v[168:169], v[112:113]
	v_add_f64 v[6:7], v[112:113], v[6:7]
	v_fma_f64 v[112:113], v[170:171], s[20:21], -v[114:115]
	v_add_f64 v[8:9], v[112:113], v[8:9]
	v_mul_f64 v[112:113], v[110:111], s[40:41]
	v_accvgpr_write_b32 a80, v114
	v_accvgpr_write_b32 a84, v112
	;; [unrolled: 1-line block ×3, first 2 shown]
	v_mul_f64 v[114:115], v[108:109], s[40:41]
	v_accvgpr_write_b32 a85, v113
	v_fma_f64 v[112:113], s[0:1], v[168:169], v[112:113]
	v_add_f64 v[10:11], v[112:113], v[10:11]
	v_fma_f64 v[112:113], v[170:171], s[0:1], -v[114:115]
	v_accvgpr_write_b32 a86, v114
	v_add_f64 v[80:81], v[112:113], v[80:81]
	v_mul_f64 v[112:113], v[110:111], s[42:43]
	v_accvgpr_write_b32 a87, v115
	v_fma_f64 v[114:115], v[168:169], s[16:17], -v[112:113]
	v_add_f64 v[88:89], v[114:115], v[88:89]
	v_mul_f64 v[114:115], v[108:109], s[42:43]
	v_fmac_f64_e32 v[112:113], s[16:17], v[168:169]
	v_add_f64 v[92:93], v[112:113], v[92:93]
	v_fma_f64 v[112:113], v[170:171], s[16:17], -v[114:115]
	v_mul_f64 v[110:111], v[110:111], s[34:35]
	v_add_f64 v[94:95], v[112:113], v[94:95]
	v_fma_f64 v[112:113], v[168:169], s[22:23], -v[110:111]
	v_mul_f64 v[108:109], v[108:109], s[34:35]
	v_fmac_f64_e32 v[110:111], s[22:23], v[168:169]
	v_add_f64 v[96:97], v[112:113], v[96:97]
	v_fma_f64 v[112:113], s[22:23], v[170:171], v[108:109]
	v_add_f64 v[100:101], v[110:111], v[100:101]
	v_add_f64 v[110:111], v[30:31], -v[66:67]
	v_add_f64 v[98:99], v[112:113], v[98:99]
	v_fma_f64 v[108:109], v[170:171], s[22:23], -v[108:109]
	v_mul_f64 v[112:113], v[110:111], s[42:43]
	v_add_f64 v[90:91], v[14:15], v[90:91]
	v_add_f64 v[102:103], v[108:109], v[102:103]
	;; [unrolled: 1-line block ×3, first 2 shown]
	v_add_f64 v[108:109], v[28:29], -v[64:65]
	v_accvgpr_write_b32 a64, v112
	v_add_f64 v[90:91], v[116:117], v[90:91]
	v_fma_f64 v[116:117], s[16:17], v[170:171], v[114:115]
	v_add_f64 v[196:197], v[30:31], v[66:67]
	v_mul_f64 v[114:115], v[108:109], s[42:43]
	v_accvgpr_write_b32 a65, v113
	v_fma_f64 v[112:113], s[16:17], v[194:195], v[112:113]
	v_add_f64 v[82:83], v[112:113], v[82:83]
	v_fma_f64 v[112:113], v[196:197], s[16:17], -v[114:115]
	v_add_f64 v[0:1], v[112:113], v[0:1]
	v_mul_f64 v[112:113], v[110:111], s[38:39]
	v_accvgpr_write_b32 a68, v114
	v_accvgpr_write_b32 a72, v112
	;; [unrolled: 1-line block ×3, first 2 shown]
	v_mul_f64 v[114:115], v[108:109], s[38:39]
	v_accvgpr_write_b32 a73, v113
	v_fma_f64 v[112:113], s[24:25], v[194:195], v[112:113]
	v_add_f64 v[2:3], v[112:113], v[2:3]
	v_fma_f64 v[112:113], v[196:197], s[24:25], -v[114:115]
	v_add_f64 v[4:5], v[112:113], v[4:5]
	v_mul_f64 v[112:113], v[110:111], s[50:51]
	v_accvgpr_write_b32 a74, v114
	v_accvgpr_write_b32 a82, v112
	;; [unrolled: 1-line block ×3, first 2 shown]
	v_mul_f64 v[114:115], v[108:109], s[50:51]
	v_accvgpr_write_b32 a83, v113
	v_fma_f64 v[112:113], s[10:11], v[194:195], v[112:113]
	v_add_f64 v[84:85], v[112:113], v[84:85]
	v_fma_f64 v[112:113], v[196:197], s[10:11], -v[114:115]
	v_mul_f64 v[216:217], v[110:111], s[46:47]
	v_add_f64 v[86:87], v[112:113], v[86:87]
	v_mul_f64 v[222:223], v[108:109], s[46:47]
	v_fma_f64 v[112:113], s[0:1], v[194:195], v[216:217]
	v_add_f64 v[104:105], v[112:113], v[104:105]
	v_fma_f64 v[112:113], v[196:197], s[0:1], -v[222:223]
	v_mul_f64 v[224:225], v[110:111], s[36:37]
	v_add_f64 v[106:107], v[112:113], v[106:107]
	v_mul_f64 v[230:231], v[108:109], s[36:37]
	v_fma_f64 v[112:113], s[2:3], v[194:195], v[224:225]
	v_add_f64 v[6:7], v[112:113], v[6:7]
	v_fma_f64 v[112:113], v[196:197], s[2:3], -v[230:231]
	v_mul_f64 v[232:233], v[110:111], s[34:35]
	v_add_f64 v[8:9], v[112:113], v[8:9]
	v_mul_f64 v[236:237], v[108:109], s[34:35]
	v_fma_f64 v[112:113], s[22:23], v[194:195], v[232:233]
	v_add_f64 v[10:11], v[112:113], v[10:11]
	v_fma_f64 v[112:113], v[196:197], s[22:23], -v[236:237]
	s_mov_b32 s55, 0x3fe9895b
	s_mov_b32 s54, s28
	v_accvgpr_write_b32 a90, v114
	v_add_f64 v[80:81], v[112:113], v[80:81]
	v_mul_f64 v[112:113], v[110:111], s[54:55]
	v_accvgpr_write_b32 a91, v115
	v_fma_f64 v[114:115], v[194:195], s[18:19], -v[112:113]
	v_add_f64 v[88:89], v[114:115], v[88:89]
	v_mul_f64 v[114:115], v[108:109], s[54:55]
	v_fmac_f64_e32 v[112:113], s[18:19], v[194:195]
	v_add_f64 v[92:93], v[112:113], v[92:93]
	v_fma_f64 v[112:113], v[196:197], s[18:19], -v[114:115]
	v_mul_f64 v[110:111], v[110:111], s[44:45]
	v_add_f64 v[94:95], v[112:113], v[94:95]
	v_fma_f64 v[112:113], v[194:195], s[20:21], -v[110:111]
	v_mul_f64 v[108:109], v[108:109], s[44:45]
	v_fmac_f64_e32 v[110:111], s[20:21], v[194:195]
	v_add_f64 v[96:97], v[112:113], v[96:97]
	v_fma_f64 v[112:113], s[20:21], v[196:197], v[108:109]
	v_add_f64 v[100:101], v[110:111], v[100:101]
	v_add_f64 v[110:111], v[34:35], -v[62:63]
	v_add_f64 v[98:99], v[112:113], v[98:99]
	v_fma_f64 v[108:109], v[196:197], s[20:21], -v[108:109]
	v_mul_f64 v[112:113], v[110:111], s[26:27]
	v_add_f64 v[102:103], v[108:109], v[102:103]
	v_add_f64 v[226:227], v[32:33], v[60:61]
	v_add_f64 v[108:109], v[32:33], -v[60:61]
	v_accvgpr_write_b32 a88, v112
	v_add_f64 v[90:91], v[116:117], v[90:91]
	v_fma_f64 v[116:117], s[18:19], v[196:197], v[114:115]
	v_add_f64 v[228:229], v[34:35], v[62:63]
	v_mul_f64 v[114:115], v[108:109], s[26:27]
	v_accvgpr_write_b32 a89, v113
	v_fma_f64 v[112:113], s[10:11], v[226:227], v[112:113]
	v_add_f64 v[82:83], v[112:113], v[82:83]
	v_fma_f64 v[112:113], v[228:229], s[10:11], -v[114:115]
	v_mul_f64 v[218:219], v[110:111], s[52:53]
	v_add_f64 v[0:1], v[112:113], v[0:1]
	v_mul_f64 v[220:221], v[108:109], s[52:53]
	v_fma_f64 v[112:113], s[22:23], v[226:227], v[218:219]
	v_add_f64 v[2:3], v[112:113], v[2:3]
	v_fma_f64 v[112:113], v[228:229], s[22:23], -v[220:221]
	v_mul_f64 v[234:235], v[110:111], s[44:45]
	v_add_f64 v[4:5], v[112:113], v[4:5]
	v_mul_f64 v[240:241], v[108:109], s[44:45]
	v_fma_f64 v[112:113], s[20:21], v[226:227], v[234:235]
	v_add_f64 v[84:85], v[112:113], v[84:85]
	v_fma_f64 v[112:113], v[228:229], s[20:21], -v[240:241]
	v_mul_f64 v[244:245], v[110:111], s[36:37]
	v_add_f64 v[86:87], v[112:113], v[86:87]
	v_mul_f64 v[248:249], v[108:109], s[36:37]
	v_fma_f64 v[112:113], s[2:3], v[226:227], v[244:245]
	v_add_f64 v[104:105], v[112:113], v[104:105]
	v_fma_f64 v[112:113], v[228:229], s[2:3], -v[248:249]
	v_mul_f64 v[120:121], v[110:111], s[38:39]
	v_add_f64 v[106:107], v[112:113], v[106:107]
	v_mul_f64 v[122:123], v[108:109], s[38:39]
	v_fma_f64 v[112:113], s[24:25], v[226:227], v[120:121]
	s_mov_b32 s37, 0x3fefdd0d
	s_mov_b32 s36, s42
	v_add_f64 v[6:7], v[112:113], v[6:7]
	v_fma_f64 v[112:113], v[228:229], s[24:25], -v[122:123]
	v_mul_f64 v[124:125], v[110:111], s[36:37]
	v_add_f64 v[8:9], v[112:113], v[8:9]
	v_mul_f64 v[128:129], v[108:109], s[36:37]
	v_fma_f64 v[112:113], s[16:17], v[226:227], v[124:125]
	v_add_f64 v[10:11], v[112:113], v[10:11]
	v_fma_f64 v[112:113], v[228:229], s[16:17], -v[128:129]
	v_accvgpr_write_b32 a92, v114
	v_add_f64 v[80:81], v[112:113], v[80:81]
	v_mul_f64 v[112:113], v[110:111], s[40:41]
	v_accvgpr_write_b32 a93, v115
	v_fma_f64 v[114:115], v[226:227], s[0:1], -v[112:113]
	v_add_f64 v[88:89], v[114:115], v[88:89]
	v_mul_f64 v[114:115], v[108:109], s[40:41]
	v_fmac_f64_e32 v[112:113], s[0:1], v[226:227]
	v_add_f64 v[92:93], v[112:113], v[92:93]
	v_fma_f64 v[112:113], v[228:229], s[0:1], -v[114:115]
	v_mul_f64 v[110:111], v[110:111], s[28:29]
	v_add_f64 v[94:95], v[112:113], v[94:95]
	v_fma_f64 v[112:113], v[226:227], s[18:19], -v[110:111]
	v_mul_f64 v[108:109], v[108:109], s[28:29]
	v_add_f64 v[136:137], v[38:39], -v[58:59]
	v_add_f64 v[96:97], v[112:113], v[96:97]
	v_fma_f64 v[112:113], s[18:19], v[228:229], v[108:109]
	v_fma_f64 v[108:109], v[228:229], s[18:19], -v[108:109]
	v_add_f64 v[252:253], v[36:37], v[56:57]
	v_add_f64 v[134:135], v[36:37], -v[56:57]
	v_mul_f64 v[238:239], v[136:137], s[28:29]
	v_add_f64 v[102:103], v[108:109], v[102:103]
	v_add_f64 v[254:255], v[38:39], v[58:59]
	v_mul_f64 v[242:243], v[134:135], s[28:29]
	v_fma_f64 v[108:109], s[18:19], v[252:253], v[238:239]
	v_add_f64 v[82:83], v[108:109], v[82:83]
	v_fma_f64 v[108:109], v[254:255], s[18:19], -v[242:243]
	v_mul_f64 v[246:247], v[136:137], s[50:51]
	v_add_f64 v[0:1], v[108:109], v[0:1]
	v_mul_f64 v[250:251], v[134:135], s[50:51]
	v_fma_f64 v[108:109], s[10:11], v[252:253], v[246:247]
	v_add_f64 v[2:3], v[108:109], v[2:3]
	v_fma_f64 v[108:109], v[254:255], s[10:11], -v[250:251]
	v_mul_f64 v[126:127], v[136:137], s[40:41]
	v_add_f64 v[90:91], v[116:117], v[90:91]
	v_fma_f64 v[116:117], s[0:1], v[228:229], v[114:115]
	v_add_f64 v[4:5], v[108:109], v[4:5]
	v_mul_f64 v[138:139], v[134:135], s[40:41]
	v_fma_f64 v[108:109], s[0:1], v[252:253], v[126:127]
	v_add_f64 v[90:91], v[116:117], v[90:91]
	v_add_f64 v[84:85], v[108:109], v[84:85]
	v_fma_f64 v[108:109], v[254:255], s[0:1], -v[138:139]
	v_mul_f64 v[116:117], v[136:137], s[34:35]
	v_add_f64 v[86:87], v[108:109], v[86:87]
	v_mul_f64 v[118:119], v[134:135], s[34:35]
	v_fma_f64 v[108:109], s[22:23], v[252:253], v[116:117]
	v_add_f64 v[98:99], v[112:113], v[98:99]
	v_add_f64 v[104:105], v[108:109], v[104:105]
	v_fma_f64 v[108:109], v[254:255], s[22:23], -v[118:119]
	v_mul_f64 v[112:113], v[136:137], s[36:37]
	v_add_f64 v[106:107], v[108:109], v[106:107]
	v_mul_f64 v[114:115], v[134:135], s[36:37]
	v_fma_f64 v[108:109], s[16:17], v[252:253], v[112:113]
	v_add_f64 v[6:7], v[108:109], v[6:7]
	v_fma_f64 v[108:109], v[254:255], s[16:17], -v[114:115]
	v_fmac_f64_e32 v[110:111], s[18:19], v[226:227]
	v_add_f64 v[152:153], v[108:109], v[8:9]
	v_mul_f64 v[108:109], v[136:137], s[48:49]
	v_add_f64 v[100:101], v[110:111], v[100:101]
	v_mul_f64 v[110:111], v[134:135], s[48:49]
	v_fma_f64 v[8:9], s[20:21], v[252:253], v[108:109]
	v_add_f64 v[154:155], v[8:9], v[10:11]
	v_fma_f64 v[8:9], v[254:255], s[20:21], -v[110:111]
	v_add_f64 v[160:161], v[8:9], v[80:81]
	v_mul_f64 v[8:9], v[136:137], s[38:39]
	v_fma_f64 v[10:11], v[252:253], s[24:25], -v[8:9]
	v_add_f64 v[88:89], v[10:11], v[88:89]
	v_mul_f64 v[10:11], v[134:135], s[38:39]
	v_fmac_f64_e32 v[8:9], s[24:25], v[252:253]
	v_add_f64 v[162:163], v[8:9], v[92:93]
	v_fma_f64 v[8:9], v[254:255], s[24:25], -v[10:11]
	v_add_f64 v[166:167], v[8:9], v[94:95]
	v_mul_f64 v[8:9], v[136:137], s[30:31]
	v_fma_f64 v[80:81], s[24:25], v[254:255], v[10:11]
	v_fma_f64 v[10:11], v[252:253], s[2:3], -v[8:9]
	v_add_f64 v[174:175], v[10:11], v[96:97]
	v_mul_f64 v[10:11], v[134:135], s[30:31]
	v_fmac_f64_e32 v[8:9], s[2:3], v[252:253]
	v_add_f64 v[184:185], v[8:9], v[100:101]
	v_fma_f64 v[8:9], v[254:255], s[2:3], -v[10:11]
	v_add_f64 v[100:101], v[42:43], -v[54:55]
	v_add_f64 v[186:187], v[8:9], v[102:103]
	v_add_f64 v[142:143], v[40:41], v[52:53]
	v_add_f64 v[102:103], v[40:41], -v[52:53]
	v_mul_f64 v[134:135], v[100:101], s[34:35]
	v_add_f64 v[144:145], v[42:43], v[54:55]
	v_mul_f64 v[136:137], v[102:103], s[34:35]
	v_fma_f64 v[8:9], s[22:23], v[142:143], v[134:135]
	v_add_f64 v[188:189], v[8:9], v[82:83]
	v_fma_f64 v[8:9], v[144:145], s[22:23], -v[136:137]
	v_mul_f64 v[140:141], v[100:101], s[30:31]
	v_add_f64 v[198:199], v[8:9], v[0:1]
	v_mul_f64 v[202:203], v[102:103], s[30:31]
	v_fma_f64 v[0:1], s[2:3], v[142:143], v[140:141]
	v_add_f64 v[204:205], v[0:1], v[2:3]
	v_fma_f64 v[0:1], v[144:145], s[2:3], -v[202:203]
	;; [unrolled: 6-line block ×3, first 2 shown]
	v_mul_f64 v[158:159], v[100:101], s[54:55]
	v_add_f64 v[90:91], v[80:81], v[90:91]
	v_fma_f64 v[80:81], s[2:3], v[254:255], v[10:11]
	v_add_f64 v[10:11], v[0:1], v[86:87]
	v_mul_f64 v[164:165], v[102:103], s[54:55]
	v_fma_f64 v[0:1], s[18:19], v[142:143], v[158:159]
	v_add_f64 v[182:183], v[80:81], v[98:99]
	v_add_f64 v[80:81], v[0:1], v[104:105]
	v_fma_f64 v[0:1], v[144:145], s[18:19], -v[164:165]
	v_mul_f64 v[172:173], v[100:101], s[40:41]
	v_add_f64 v[82:83], v[0:1], v[106:107]
	v_mul_f64 v[176:177], v[102:103], s[40:41]
	v_fma_f64 v[0:1], s[0:1], v[142:143], v[172:173]
	v_add_f64 v[84:85], v[0:1], v[6:7]
	v_fma_f64 v[0:1], v[144:145], s[0:1], -v[176:177]
	v_mul_f64 v[178:179], v[100:101], s[38:39]
	v_add_f64 v[86:87], v[0:1], v[152:153]
	v_mul_f64 v[180:181], v[102:103], s[38:39]
	v_fma_f64 v[0:1], s[24:25], v[142:143], v[178:179]
	v_add_f64 v[92:93], v[0:1], v[154:155]
	v_fma_f64 v[0:1], v[144:145], s[24:25], -v[180:181]
	v_add_f64 v[94:95], v[0:1], v[160:161]
	v_mul_f64 v[0:1], v[100:101], s[44:45]
	v_fma_f64 v[2:3], v[142:143], s[20:21], -v[0:1]
	v_add_f64 v[88:89], v[2:3], v[88:89]
	v_mul_f64 v[2:3], v[102:103], s[44:45]
	v_fmac_f64_e32 v[0:1], s[20:21], v[142:143]
	v_add_f64 v[96:97], v[0:1], v[162:163]
	v_fma_f64 v[0:1], v[144:145], s[20:21], -v[2:3]
	v_add_f64 v[98:99], v[0:1], v[166:167]
	v_mul_f64 v[0:1], v[100:101], s[26:27]
	v_fma_f64 v[4:5], s[20:21], v[144:145], v[2:3]
	v_fma_f64 v[2:3], v[142:143], s[10:11], -v[0:1]
	v_add_f64 v[190:191], v[44:45], -v[48:49]
	v_add_f64 v[100:101], v[2:3], v[174:175]
	v_mul_f64 v[2:3], v[102:103], s[26:27]
	v_fmac_f64_e32 v[0:1], s[10:11], v[142:143]
	v_add_f64 v[162:163], v[46:47], v[50:51]
	v_add_f64 v[192:193], v[46:47], -v[50:51]
	v_mul_f64 v[154:155], v[190:191], s[38:39]
	v_add_f64 v[90:91], v[4:5], v[90:91]
	v_fma_f64 v[4:5], s[10:11], v[144:145], v[2:3]
	v_add_f64 v[104:105], v[0:1], v[184:185]
	v_fma_f64 v[0:1], v[144:145], s[10:11], -v[2:3]
	v_add_f64 v[160:161], v[44:45], v[48:49]
	v_mul_f64 v[152:153], v[192:193], s[38:39]
	v_fma_f64 v[2:3], v[162:163], s[24:25], -v[154:155]
	v_mul_f64 v[166:167], v[192:193], s[46:47]
	v_mul_f64 v[174:175], v[190:191], s[46:47]
	v_add_f64 v[102:103], v[4:5], v[182:183]
	v_add_f64 v[106:107], v[0:1], v[186:187]
	v_fma_f64 v[0:1], s[24:25], v[160:161], v[152:153]
	v_add_f64 v[2:3], v[2:3], v[198:199]
	v_fma_f64 v[4:5], s[0:1], v[160:161], v[166:167]
	v_fma_f64 v[6:7], v[162:163], s[0:1], -v[174:175]
	v_mul_f64 v[182:183], v[192:193], s[34:35]
	v_add_f64 v[0:1], v[0:1], v[188:189]
	v_add_f64 v[204:205], v[4:5], v[204:205]
	;; [unrolled: 1-line block ×3, first 2 shown]
	v_mov_b64_e32 v[6:7], v[2:3]
	v_mul_f64 v[184:185], v[190:191], s[34:35]
	v_fma_f64 v[186:187], s[22:23], v[160:161], v[182:183]
	v_mov_b64_e32 v[4:5], v[0:1]
	v_add_f64 v[0:1], v[186:187], v[8:9]
	v_fma_f64 v[186:187], v[162:163], s[22:23], -v[184:185]
	v_add_f64 v[2:3], v[186:187], v[10:11]
	v_mul_f64 v[186:187], v[192:193], s[44:45]
	v_mul_f64 v[188:189], v[190:191], s[44:45]
	v_fma_f64 v[198:199], s[20:21], v[160:161], v[186:187]
	v_add_f64 v[80:81], v[198:199], v[80:81]
	v_fma_f64 v[198:199], v[162:163], s[20:21], -v[188:189]
	v_mov_b64_e32 v[8:9], v[204:205]
	v_add_f64 v[82:83], v[198:199], v[82:83]
	v_mul_f64 v[198:199], v[192:193], s[28:29]
	v_mov_b64_e32 v[10:11], v[206:207]
	v_mul_f64 v[204:205], v[190:191], s[28:29]
	v_fma_f64 v[206:207], s[18:19], v[160:161], v[198:199]
	v_add_f64 v[84:85], v[206:207], v[84:85]
	v_fma_f64 v[206:207], v[162:163], s[18:19], -v[204:205]
	v_add_f64 v[86:87], v[206:207], v[86:87]
	v_mul_f64 v[206:207], v[192:193], s[30:31]
	v_mul_f64 v[208:209], v[190:191], s[30:31]
	v_fma_f64 v[210:211], s[2:3], v[160:161], v[206:207]
	v_add_f64 v[92:93], v[210:211], v[92:93]
	v_fma_f64 v[210:211], v[162:163], s[2:3], -v[208:209]
	v_add_f64 v[94:95], v[210:211], v[94:95]
	v_mul_f64 v[210:211], v[192:193], s[26:27]
	v_fma_f64 v[212:213], v[160:161], s[10:11], -v[210:211]
	v_add_f64 v[88:89], v[212:213], v[88:89]
	v_mul_f64 v[212:213], v[190:191], s[26:27]
	v_fmac_f64_e32 v[210:211], s[10:11], v[160:161]
	v_add_f64 v[96:97], v[210:211], v[96:97]
	v_fma_f64 v[210:211], v[162:163], s[10:11], -v[212:213]
	v_mul_f64 v[192:193], v[192:193], s[36:37]
	v_accvgpr_write_b32 a5, v3
	v_add_f64 v[98:99], v[210:211], v[98:99]
	v_fma_f64 v[210:211], v[160:161], s[16:17], -v[192:193]
	v_mul_f64 v[190:191], v[190:191], s[36:37]
	v_accvgpr_write_b32 a4, v2
	v_accvgpr_write_b32 a3, v1
	;; [unrolled: 1-line block ×3, first 2 shown]
	v_fma_f64 v[214:215], s[10:11], v[162:163], v[212:213]
	v_add_f64 v[100:101], v[210:211], v[100:101]
	v_fma_f64 v[210:211], s[16:17], v[162:163], v[190:191]
	v_fmac_f64_e32 v[192:193], s[16:17], v[160:161]
	v_fma_f64 v[190:191], v[162:163], s[16:17], -v[190:191]
	v_mul_lo_u16_e32 v0, 17, v201
	v_add_f64 v[90:91], v[214:215], v[90:91]
	v_add_f64 v[102:103], v[210:211], v[102:103]
	;; [unrolled: 1-line block ×4, first 2 shown]
	v_accvgpr_write_b32 a1, v0
	s_waitcnt lgkmcnt(0)
	s_barrier
	s_and_saveexec_b64 s[26:27], s[4:5]
	s_cbranch_execz .LBB0_7
; %bb.6:
	v_mul_f64 v[190:191], v[162:163], s[2:3]
	v_accvgpr_read_b32 v0, a86
	v_add_f64 v[190:191], v[208:209], v[190:191]
	v_mul_f64 v[208:209], v[170:171], s[0:1]
	v_accvgpr_read_b32 v1, a87
	v_add_f64 v[208:209], v[0:1], v[208:209]
	v_accvgpr_read_b32 v0, a62
	v_mul_f64 v[210:211], v[148:149], s[10:11]
	v_accvgpr_read_b32 v1, a63
	v_add_f64 v[210:211], v[0:1], v[210:211]
	v_accvgpr_read_b32 v0, a36
	v_mul_f64 v[192:193], v[144:145], s[24:25]
	v_mul_f64 v[212:213], v[132:133], s[18:19]
	v_accvgpr_read_b32 v1, a37
	v_add_f64 v[180:181], v[180:181], v[192:193]
	v_mul_f64 v[192:193], v[254:255], s[20:21]
	v_add_f64 v[212:213], v[0:1], v[212:213]
	v_add_f64 v[110:111], v[110:111], v[192:193]
	v_mul_f64 v[192:193], v[228:229], s[16:17]
	v_add_f64 v[212:213], v[14:15], v[212:213]
	;; [unrolled: 3-line block ×3, first 2 shown]
	v_add_f64 v[192:193], v[236:237], v[192:193]
	v_add_f64 v[208:209], v[208:209], v[210:211]
	;; [unrolled: 1-line block ×3, first 2 shown]
	v_accvgpr_read_b32 v0, a84
	v_add_f64 v[128:129], v[128:129], v[192:193]
	v_mul_f64 v[192:193], v[168:169], s[0:1]
	v_accvgpr_read_b32 v1, a85
	v_add_f64 v[110:111], v[110:111], v[128:129]
	v_mul_f64 v[128:129], v[160:161], s[2:3]
	v_add_f64 v[192:193], v[192:193], -v[0:1]
	v_accvgpr_read_b32 v0, a60
	v_add_f64 v[128:129], v[128:129], -v[206:207]
	v_mul_f64 v[206:207], v[146:147], s[10:11]
	v_accvgpr_read_b32 v1, a61
	v_add_f64 v[206:207], v[206:207], -v[0:1]
	v_accvgpr_read_b32 v0, a34
	v_add_f64 v[110:111], v[180:181], v[110:111]
	v_mul_f64 v[180:181], v[142:143], s[24:25]
	v_mul_f64 v[208:209], v[130:131], s[18:19]
	v_accvgpr_read_b32 v1, a35
	v_add_f64 v[178:179], v[180:181], -v[178:179]
	v_mul_f64 v[180:181], v[252:253], s[20:21]
	v_add_f64 v[208:209], v[208:209], -v[0:1]
	v_add_f64 v[108:109], v[180:181], -v[108:109]
	v_mul_f64 v[180:181], v[226:227], s[16:17]
	v_add_f64 v[208:209], v[12:13], v[208:209]
	v_add_f64 v[124:125], v[180:181], -v[124:125]
	v_mul_f64 v[180:181], v[194:195], s[22:23]
	v_add_f64 v[206:207], v[206:207], v[208:209]
	v_add_f64 v[180:181], v[180:181], -v[232:233]
	v_add_f64 v[192:193], v[192:193], v[206:207]
	v_add_f64 v[180:181], v[180:181], v[192:193]
	v_add_f64 v[124:125], v[124:125], v[180:181]
	v_add_f64 v[108:109], v[108:109], v[124:125]
	v_accvgpr_read_b32 v0, a80
	v_add_f64 v[108:109], v[178:179], v[108:109]
	v_mul_f64 v[178:179], v[170:171], s[20:21]
	v_accvgpr_read_b32 v1, a81
	v_add_f64 v[178:179], v[0:1], v[178:179]
	v_accvgpr_read_b32 v0, a56
	v_mul_f64 v[180:181], v[148:149], s[22:23]
	v_accvgpr_read_b32 v1, a57
	v_add_f64 v[180:181], v[0:1], v[180:181]
	v_accvgpr_read_b32 v0, a32
	v_add_f64 v[110:111], v[190:191], v[110:111]
	v_add_f64 v[108:109], v[128:129], v[108:109]
	v_mul_f64 v[128:129], v[144:145], s[0:1]
	v_mul_f64 v[190:191], v[132:133], s[10:11]
	v_accvgpr_read_b32 v1, a33
	v_add_f64 v[128:129], v[176:177], v[128:129]
	v_mul_f64 v[176:177], v[254:255], s[16:17]
	v_add_f64 v[190:191], v[0:1], v[190:191]
	v_add_f64 v[114:115], v[114:115], v[176:177]
	v_mul_f64 v[176:177], v[228:229], s[24:25]
	v_add_f64 v[190:191], v[14:15], v[190:191]
	;; [unrolled: 3-line block ×3, first 2 shown]
	v_add_f64 v[176:177], v[230:231], v[176:177]
	v_add_f64 v[178:179], v[178:179], v[180:181]
	;; [unrolled: 1-line block ×3, first 2 shown]
	v_accvgpr_read_b32 v0, a78
	v_add_f64 v[122:123], v[122:123], v[176:177]
	v_mul_f64 v[176:177], v[168:169], s[20:21]
	v_accvgpr_read_b32 v1, a79
	v_add_f64 v[176:177], v[176:177], -v[0:1]
	v_accvgpr_read_b32 v0, a54
	v_mul_f64 v[178:179], v[146:147], s[22:23]
	v_accvgpr_read_b32 v1, a55
	v_add_f64 v[114:115], v[114:115], v[122:123]
	v_add_f64 v[178:179], v[178:179], -v[0:1]
	v_accvgpr_read_b32 v0, a26
	v_add_f64 v[114:115], v[128:129], v[114:115]
	v_mul_f64 v[128:129], v[142:143], s[0:1]
	v_mul_f64 v[180:181], v[130:131], s[10:11]
	v_accvgpr_read_b32 v1, a27
	v_add_f64 v[128:129], v[128:129], -v[172:173]
	v_mul_f64 v[172:173], v[252:253], s[16:17]
	v_add_f64 v[180:181], v[180:181], -v[0:1]
	v_add_f64 v[112:113], v[172:173], -v[112:113]
	v_mul_f64 v[172:173], v[226:227], s[24:25]
	v_add_f64 v[180:181], v[12:13], v[180:181]
	v_add_f64 v[120:121], v[172:173], -v[120:121]
	v_mul_f64 v[172:173], v[194:195], s[2:3]
	v_add_f64 v[178:179], v[178:179], v[180:181]
	v_add_f64 v[172:173], v[172:173], -v[224:225]
	v_add_f64 v[176:177], v[176:177], v[178:179]
	v_add_f64 v[172:173], v[172:173], v[176:177]
	;; [unrolled: 1-line block ×3, first 2 shown]
	v_mul_f64 v[122:123], v[160:161], s[18:19]
	v_add_f64 v[112:113], v[112:113], v[120:121]
	v_add_f64 v[122:123], v[122:123], -v[198:199]
	v_add_f64 v[112:113], v[128:129], v[112:113]
	v_add_f64 v[112:113], v[122:123], v[112:113]
	v_mul_f64 v[122:123], v[144:145], s[18:19]
	v_accvgpr_read_b32 v0, a76
	v_add_f64 v[122:123], v[164:165], v[122:123]
	v_mul_f64 v[164:165], v[170:171], s[10:11]
	v_accvgpr_read_b32 v1, a77
	v_add_f64 v[164:165], v[0:1], v[164:165]
	v_accvgpr_read_b32 v0, a50
	v_mul_f64 v[172:173], v[148:149], s[24:25]
	v_accvgpr_read_b32 v1, a51
	v_add_f64 v[172:173], v[0:1], v[172:173]
	v_accvgpr_read_b32 v0, a22
	v_mul_f64 v[176:177], v[132:133], s[16:17]
	v_accvgpr_read_b32 v1, a23
	v_add_f64 v[176:177], v[0:1], v[176:177]
	v_add_f64 v[176:177], v[14:15], v[176:177]
	v_mul_f64 v[128:129], v[196:197], s[0:1]
	v_add_f64 v[172:173], v[172:173], v[176:177]
	v_add_f64 v[128:129], v[222:223], v[128:129]
	;; [unrolled: 1-line block ×3, first 2 shown]
	v_accvgpr_read_b32 v0, a70
	v_mul_f64 v[124:125], v[162:163], s[18:19]
	v_add_f64 v[128:129], v[128:129], v[164:165]
	v_mul_f64 v[164:165], v[168:169], s[10:11]
	v_accvgpr_read_b32 v1, a71
	v_add_f64 v[124:125], v[204:205], v[124:125]
	v_add_f64 v[164:165], v[164:165], -v[0:1]
	v_accvgpr_read_b32 v0, a46
	v_add_f64 v[114:115], v[124:125], v[114:115]
	v_mul_f64 v[124:125], v[254:255], s[22:23]
	v_mul_f64 v[172:173], v[146:147], s[24:25]
	v_accvgpr_read_b32 v1, a47
	v_add_f64 v[118:119], v[118:119], v[124:125]
	v_mul_f64 v[124:125], v[228:229], s[2:3]
	v_add_f64 v[172:173], v[172:173], -v[0:1]
	v_accvgpr_read_b32 v0, a18
	v_add_f64 v[124:125], v[248:249], v[124:125]
	v_mul_f64 v[176:177], v[130:131], s[16:17]
	v_accvgpr_read_b32 v1, a19
	v_add_f64 v[124:125], v[124:125], v[128:129]
	v_add_f64 v[176:177], v[176:177], -v[0:1]
	v_add_f64 v[118:119], v[118:119], v[124:125]
	v_mul_f64 v[124:125], v[142:143], s[18:19]
	v_add_f64 v[176:177], v[12:13], v[176:177]
	v_add_f64 v[124:125], v[124:125], -v[158:159]
	v_mul_f64 v[128:129], v[252:253], s[22:23]
	v_mul_f64 v[158:159], v[194:195], s[0:1]
	v_add_f64 v[172:173], v[172:173], v[176:177]
	v_add_f64 v[116:117], v[128:129], -v[116:117]
	v_mul_f64 v[128:129], v[226:227], s[2:3]
	v_add_f64 v[158:159], v[158:159], -v[216:217]
	v_add_f64 v[164:165], v[164:165], v[172:173]
	v_add_f64 v[128:129], v[128:129], -v[244:245]
	v_add_f64 v[158:159], v[158:159], v[164:165]
	v_add_f64 v[128:129], v[128:129], v[158:159]
	;; [unrolled: 1-line block ×4, first 2 shown]
	v_mul_f64 v[122:123], v[160:161], s[20:21]
	v_add_f64 v[116:117], v[124:125], v[116:117]
	v_mul_f64 v[124:125], v[254:255], s[0:1]
	v_accvgpr_read_b32 v0, a90
	v_add_f64 v[122:123], v[122:123], -v[186:187]
	v_add_f64 v[124:125], v[138:139], v[124:125]
	v_mul_f64 v[138:139], v[196:197], s[10:11]
	v_accvgpr_read_b32 v1, a91
	v_add_f64 v[116:117], v[122:123], v[116:117]
	v_mul_f64 v[122:123], v[144:145], s[16:17]
	v_add_f64 v[138:139], v[0:1], v[138:139]
	v_accvgpr_read_b32 v0, a66
	v_add_f64 v[122:123], v[156:157], v[122:123]
	v_mul_f64 v[156:157], v[170:171], s[24:25]
	v_accvgpr_read_b32 v1, a67
	v_add_f64 v[156:157], v[0:1], v[156:157]
	v_accvgpr_read_b32 v0, a40
	v_mul_f64 v[158:159], v[148:149], s[18:19]
	v_accvgpr_read_b32 v1, a41
	v_add_f64 v[158:159], v[0:1], v[158:159]
	v_accvgpr_read_b32 v0, a16
	v_mul_f64 v[164:165], v[132:133], s[2:3]
	v_accvgpr_read_b32 v1, a17
	v_add_f64 v[164:165], v[0:1], v[164:165]
	v_add_f64 v[164:165], v[14:15], v[164:165]
	v_accvgpr_read_b32 v0, a82
	v_add_f64 v[158:159], v[158:159], v[164:165]
	v_mul_f64 v[178:179], v[194:195], s[10:11]
	v_accvgpr_read_b32 v1, a83
	v_mul_f64 v[128:129], v[228:229], s[20:21]
	v_add_f64 v[156:157], v[156:157], v[158:159]
	v_add_f64 v[178:179], v[178:179], -v[0:1]
	v_accvgpr_read_b32 v0, a58
	v_add_f64 v[128:129], v[240:241], v[128:129]
	v_add_f64 v[138:139], v[138:139], v[156:157]
	v_mul_f64 v[180:181], v[168:169], s[24:25]
	v_accvgpr_read_b32 v1, a59
	v_add_f64 v[128:129], v[128:129], v[138:139]
	v_add_f64 v[180:181], v[180:181], -v[0:1]
	v_accvgpr_read_b32 v0, a38
	v_mul_f64 v[156:157], v[146:147], s[20:21]
	v_add_f64 v[124:125], v[124:125], v[128:129]
	v_mul_f64 v[128:129], v[146:147], s[16:17]
	v_mul_f64 v[146:147], v[146:147], s[18:19]
	v_accvgpr_read_b32 v1, a39
	v_add_f64 v[146:147], v[146:147], -v[0:1]
	v_accvgpr_read_b32 v0, a14
	v_mul_f64 v[172:173], v[130:131], s[0:1]
	v_mul_f64 v[158:159], v[130:131], s[20:21]
	;; [unrolled: 1-line block ×3, first 2 shown]
	v_accvgpr_read_b32 v1, a15
	v_mul_f64 v[120:121], v[162:163], s[20:21]
	v_add_f64 v[130:131], v[130:131], -v[0:1]
	v_accvgpr_read_b32 v0, a74
	v_add_f64 v[120:121], v[188:189], v[120:121]
	v_mul_f64 v[190:191], v[196:197], s[24:25]
	v_accvgpr_read_b32 v1, a75
	v_add_f64 v[118:119], v[120:121], v[118:119]
	v_mul_f64 v[120:121], v[162:163], s[22:23]
	v_add_f64 v[190:191], v[0:1], v[190:191]
	v_accvgpr_read_b32 v0, a52
	v_add_f64 v[120:121], v[184:185], v[120:121]
	v_mul_f64 v[184:185], v[170:171], s[2:3]
	v_mul_f64 v[170:171], v[170:171], s[18:19]
	v_accvgpr_read_b32 v1, a53
	v_add_f64 v[170:171], v[0:1], v[170:171]
	v_accvgpr_read_b32 v0, a30
	v_mul_f64 v[138:139], v[148:149], s[20:21]
	v_mul_f64 v[148:149], v[148:149], s[16:17]
	;; [unrolled: 1-line block ×3, first 2 shown]
	v_add_f64 v[130:131], v[12:13], v[130:131]
	v_accvgpr_read_b32 v1, a31
	v_add_f64 v[150:151], v[176:177], -v[150:151]
	v_mul_f64 v[176:177], v[252:253], s[0:1]
	v_add_f64 v[130:131], v[146:147], v[130:131]
	v_add_f64 v[148:149], v[0:1], v[148:149]
	v_accvgpr_read_b32 v0, a12
	v_mul_f64 v[164:165], v[132:133], s[0:1]
	v_mul_f64 v[132:133], v[132:133], s[20:21]
	v_add_f64 v[126:127], v[176:177], -v[126:127]
	v_mul_f64 v[176:177], v[226:227], s[20:21]
	v_add_f64 v[130:131], v[180:181], v[130:131]
	v_accvgpr_read_b32 v1, a13
	v_add_f64 v[176:177], v[176:177], -v[234:235]
	v_add_f64 v[130:131], v[178:179], v[130:131]
	v_add_f64 v[132:133], v[0:1], v[132:133]
	;; [unrolled: 1-line block ×5, first 2 shown]
	v_mul_f64 v[124:125], v[160:161], s[22:23]
	v_add_f64 v[126:127], v[126:127], v[130:131]
	v_add_f64 v[132:133], v[148:149], v[132:133]
	v_add_f64 v[124:125], v[124:125], -v[182:183]
	v_mul_f64 v[186:187], v[194:195], s[16:17]
	v_mul_f64 v[188:189], v[194:195], s[24:25]
	;; [unrolled: 1-line block ×3, first 2 shown]
	v_add_f64 v[126:127], v[150:151], v[126:127]
	v_add_f64 v[132:133], v[170:171], v[132:133]
	v_accvgpr_read_b32 v0, a72
	v_mul_f64 v[198:199], v[254:255], s[10:11]
	v_mul_f64 v[150:151], v[142:143], s[22:23]
	v_add_f64 v[122:123], v[120:121], v[122:123]
	v_add_f64 v[120:121], v[124:125], v[126:127]
	v_mul_f64 v[124:125], v[142:143], s[2:3]
	v_mul_f64 v[142:143], v[162:163], s[0:1]
	v_add_f64 v[194:195], v[220:221], v[194:195]
	v_add_f64 v[132:133], v[190:191], v[132:133]
	v_accvgpr_read_b32 v1, a73
	v_mul_f64 v[126:127], v[144:145], s[2:3]
	v_add_f64 v[142:143], v[174:175], v[142:143]
	v_add_f64 v[174:175], v[250:251], v[198:199]
	;; [unrolled: 1-line block ×3, first 2 shown]
	v_add_f64 v[148:149], v[188:189], -v[0:1]
	v_accvgpr_read_b32 v0, a48
	v_mul_f64 v[182:183], v[168:169], s[2:3]
	v_mul_f64 v[168:169], v[168:169], s[18:19]
	;; [unrolled: 1-line block ×5, first 2 shown]
	v_add_f64 v[126:127], v[202:203], v[126:127]
	v_add_f64 v[132:133], v[174:175], v[132:133]
	v_accvgpr_read_b32 v1, a49
	v_add_f64 v[126:127], v[126:127], v[132:133]
	v_add_f64 v[132:133], v[160:161], -v[166:167]
	v_add_f64 v[160:161], v[168:169], -v[0:1]
	v_accvgpr_read_b32 v0, a28
	v_accvgpr_read_b32 v1, a29
	v_add_f64 v[128:129], v[128:129], -v[0:1]
	v_accvgpr_read_b32 v0, a10
	v_accvgpr_read_b32 v1, a11
	v_add_f64 v[158:159], v[158:159], -v[0:1]
	v_add_f64 v[158:159], v[12:13], v[158:159]
	v_add_f64 v[128:129], v[128:129], v[158:159]
	v_mul_f64 v[192:193], v[226:227], s[22:23]
	v_add_f64 v[128:129], v[160:161], v[128:129]
	v_mul_f64 v[146:147], v[196:197], s[16:17]
	v_mul_f64 v[196:197], v[252:253], s[10:11]
	v_add_f64 v[126:127], v[142:143], v[126:127]
	v_add_f64 v[142:143], v[192:193], -v[218:219]
	v_add_f64 v[128:129], v[148:149], v[128:129]
	v_add_f64 v[124:125], v[124:125], -v[140:141]
	v_add_f64 v[140:141], v[196:197], -v[246:247]
	v_add_f64 v[128:129], v[142:143], v[128:129]
	v_add_f64 v[128:129], v[140:141], v[128:129]
	v_accvgpr_read_b32 v0, a92
	v_mul_f64 v[178:179], v[228:229], s[10:11]
	v_add_f64 v[124:125], v[124:125], v[128:129]
	v_accvgpr_read_b32 v1, a93
	v_add_f64 v[124:125], v[132:133], v[124:125]
	v_add_f64 v[132:133], v[136:137], v[204:205]
	;; [unrolled: 1-line block ×3, first 2 shown]
	v_accvgpr_read_b32 v0, a68
	v_accvgpr_read_b32 v1, a69
	v_add_f64 v[140:141], v[0:1], v[146:147]
	v_accvgpr_read_b32 v0, a44
	v_accvgpr_read_b32 v1, a45
	v_add_f64 v[142:143], v[0:1], v[184:185]
	;; [unrolled: 3-line block ×4, first 2 shown]
	v_add_f64 v[146:147], v[14:15], v[146:147]
	v_add_f64 v[138:139], v[138:139], v[146:147]
	;; [unrolled: 1-line block ×3, first 2 shown]
	v_mul_f64 v[130:131], v[254:255], s[18:19]
	v_add_f64 v[138:139], v[140:141], v[138:139]
	v_accvgpr_read_b32 v0, a88
	v_mul_f64 v[180:181], v[226:227], s[10:11]
	v_add_f64 v[130:131], v[242:243], v[130:131]
	v_add_f64 v[136:137], v[136:137], v[138:139]
	v_accvgpr_read_b32 v1, a89
	v_add_f64 v[130:131], v[130:131], v[136:137]
	v_add_f64 v[136:137], v[180:181], -v[0:1]
	v_accvgpr_read_b32 v0, a64
	v_accvgpr_read_b32 v1, a65
	v_add_f64 v[138:139], v[186:187], -v[0:1]
	v_accvgpr_read_b32 v0, a42
	v_accvgpr_read_b32 v1, a43
	v_add_f64 v[140:141], v[182:183], -v[0:1]
	v_accvgpr_read_b32 v0, a20
	v_accvgpr_read_b32 v1, a21
	v_mul_f64 v[162:163], v[162:163], s[24:25]
	v_add_f64 v[142:143], v[156:157], -v[0:1]
	v_accvgpr_read_b32 v0, a6
	v_add_f64 v[128:129], v[154:155], v[162:163]
	v_add_f64 v[130:131], v[132:133], v[130:131]
	v_accvgpr_read_b32 v1, a7
	v_add_f64 v[130:131], v[128:129], v[130:131]
	v_add_f64 v[128:129], v[144:145], -v[152:153]
	v_add_f64 v[144:145], v[172:173], -v[0:1]
	v_add_f64 v[144:145], v[12:13], v[144:145]
	v_add_f64 v[14:15], v[14:15], v[18:19]
	;; [unrolled: 1-line block ×27, first 2 shown]
	v_mul_f64 v[176:177], v[252:253], s[18:19]
	v_add_f64 v[138:139], v[138:139], v[140:141]
	v_add_f64 v[14:15], v[14:15], v[66:67]
	;; [unrolled: 1-line block ×3, first 2 shown]
	v_add_f64 v[132:133], v[150:151], -v[134:135]
	v_add_f64 v[134:135], v[176:177], -v[238:239]
	v_add_f64 v[136:137], v[136:137], v[138:139]
	v_add_f64 v[14:15], v[14:15], v[70:71]
	;; [unrolled: 1-line block ×6, first 2 shown]
	v_accvgpr_read_b32 v0, a1
	v_add_f64 v[132:133], v[132:133], v[134:135]
	v_add_f64 v[14:15], v[14:15], v[78:79]
	v_add_f64 v[12:13], v[12:13], v[76:77]
	v_lshlrev_b32_e32 v0, 4, v0
	v_add_f64 v[128:129], v[128:129], v[132:133]
	ds_write_b128 v0, v[12:15]
	ds_write_b128 v0, v[128:131] offset:16
	ds_write_b128 v0, v[124:127] offset:32
	;; [unrolled: 1-line block ×16, first 2 shown]
.LBB0_7:
	s_or_b64 exec, exec, s[26:27]
	s_waitcnt lgkmcnt(0)
	s_barrier
	ds_read_b128 v[60:63], v200
	ds_read_b128 v[112:115], v200 offset:2448
	ds_read_b128 v[108:111], v200 offset:4896
	;; [unrolled: 1-line block ×6, first 2 shown]
	v_cmp_gt_u16_e64 s[2:3], 34, v201
	s_and_saveexec_b64 s[0:1], s[2:3]
	s_cbranch_execz .LBB0_9
; %bb.8:
	ds_read_b128 v[88:91], v200 offset:1904
	ds_read_b128 v[100:103], v200 offset:4352
	;; [unrolled: 1-line block ×7, first 2 shown]
.LBB0_9:
	s_or_b64 exec, exec, s[0:1]
	s_movk_i32 s0, 0xf1
	v_mul_lo_u16_sdwa v0, v201, s0 dst_sel:DWORD dst_unused:UNUSED_PAD src0_sel:BYTE_0 src1_sel:DWORD
	v_lshrrev_b16_e32 v0, 12, v0
	v_mul_lo_u16_e32 v1, 17, v0
	v_sub_u16_e32 v1, v201, v1
	v_and_b32_e32 v1, 0xff, v1
	v_mul_u32_u24_e32 v2, 6, v1
	v_lshlrev_b32_e32 v2, 4, v2
	global_load_dwordx4 v[148:151], v2, s[6:7] offset:16
	global_load_dwordx4 v[156:159], v2, s[6:7]
	global_load_dwordx4 v[144:147], v2, s[6:7] offset:48
	global_load_dwordx4 v[152:155], v2, s[6:7] offset:32
	;; [unrolled: 1-line block ×4, first 2 shown]
	v_add_u16_e32 v2, 0x77, v201
	v_mul_lo_u16_sdwa v3, v2, s0 dst_sel:DWORD dst_unused:UNUSED_PAD src0_sel:BYTE_0 src1_sel:DWORD
	v_lshrrev_b16_e32 v186, 12, v3
	v_mul_lo_u16_e32 v3, 17, v186
	v_sub_u16_e32 v2, v2, v3
	v_and_b32_e32 v187, 0xff, v2
	v_mul_u32_u24_e32 v2, 6, v187
	v_lshlrev_b32_e32 v2, 4, v2
	global_load_dwordx4 v[36:39], v2, s[6:7]
	global_load_dwordx4 v[54:57], v2, s[6:7] offset:16
	global_load_dwordx4 v[50:53], v2, s[6:7] offset:32
	;; [unrolled: 1-line block ×5, first 2 shown]
	s_mov_b32 s20, 0xe976ee23
	s_mov_b32 s16, 0x37e14327
	s_mov_b32 s0, 0x36b3c0b5
	s_mov_b32 s21, 0xbfe11646
	s_mov_b32 s18, 0x429ad128
	s_mov_b32 s22, 0xaaaaaaaa
	s_mov_b32 s17, 0x3fe948f6
	s_mov_b32 s1, 0x3fac98ee
	s_mov_b32 s19, 0x3febfeb5
	s_mov_b32 s23, 0xbff2aaaa
	s_mov_b32 s24, 0x5476071b
	s_mov_b32 s28, 0xb247c609
	s_mov_b32 s25, 0x3fe77f67
	s_mov_b32 s27, 0xbfe77f67
	s_mov_b32 s26, s24
	s_mov_b32 s29, 0x3fd5d0dc
	s_mov_b32 s35, 0xbfd5d0dc
	s_mov_b32 s34, s28
	s_mov_b32 s30, 0x37c3f68c
	s_mov_b32 s31, 0x3fdc38aa
	s_load_dwordx4 s[8:11], s[8:9], 0x0
	v_mul_u32_u24_e32 v0, 0x77, v0
	v_add_lshl_u32 v58, v0, v1, 4
	s_waitcnt lgkmcnt(0)
	s_barrier
	s_waitcnt vmcnt(11)
	v_mul_f64 v[16:17], v[110:111], v[150:151]
	s_waitcnt vmcnt(10)
	v_mul_f64 v[12:13], v[114:115], v[158:159]
	v_mul_f64 v[14:15], v[112:113], v[158:159]
	v_mul_f64 v[18:19], v[108:109], v[150:151]
	s_waitcnt vmcnt(7)
	v_mul_f64 v[32:33], v[66:67], v[162:163]
	s_waitcnt vmcnt(6)
	v_mul_f64 v[28:29], v[70:71], v[166:167]
	v_mul_f64 v[20:21], v[78:79], v[154:155]
	;; [unrolled: 1-line block ×5, first 2 shown]
	v_fma_f64 v[12:13], v[112:113], v[156:157], -v[12:13]
	v_fma_f64 v[16:17], v[108:109], v[148:149], -v[16:17]
	;; [unrolled: 1-line block ×4, first 2 shown]
	v_mul_f64 v[22:23], v[76:77], v[154:155]
	v_mul_f64 v[26:27], v[72:73], v[146:147]
	v_fmac_f64_e32 v[14:15], v[114:115], v[156:157]
	v_fmac_f64_e32 v[18:19], v[110:111], v[148:149]
	v_fma_f64 v[20:21], v[76:77], v[152:153], -v[20:21]
	v_fma_f64 v[24:25], v[72:73], v[144:145], -v[24:25]
	v_fmac_f64_e32 v[30:31], v[70:71], v[164:165]
	v_fmac_f64_e32 v[34:35], v[66:67], v[160:161]
	v_add_f64 v[64:65], v[12:13], v[32:33]
	v_add_f64 v[12:13], v[12:13], -v[32:33]
	v_add_f64 v[32:33], v[16:17], v[28:29]
	v_fmac_f64_e32 v[22:23], v[78:79], v[152:153]
	v_fmac_f64_e32 v[26:27], v[74:75], v[144:145]
	v_add_f64 v[66:67], v[14:15], v[34:35]
	v_add_f64 v[14:15], v[14:15], -v[34:35]
	v_add_f64 v[34:35], v[18:19], v[30:31]
	v_add_f64 v[16:17], v[16:17], -v[28:29]
	;; [unrolled: 2-line block ×3, first 2 shown]
	v_add_f64 v[24:25], v[32:33], v[64:65]
	s_waitcnt vmcnt(2)
	v_mul_f64 v[130:131], v[92:93], v[46:47]
	s_waitcnt vmcnt(0)
	v_mul_f64 v[138:139], v[80:81], v[142:143]
	v_add_f64 v[18:19], v[18:19], -v[30:31]
	v_add_f64 v[30:31], v[22:23], v[26:27]
	v_add_f64 v[22:23], v[26:27], -v[22:23]
	v_add_f64 v[26:27], v[34:35], v[66:67]
	v_add_f64 v[24:25], v[28:29], v[24:25]
	v_mul_f64 v[126:127], v[96:97], v[52:53]
	v_mul_f64 v[128:129], v[94:95], v[46:47]
	;; [unrolled: 1-line block ×4, first 2 shown]
	v_fmac_f64_e32 v[130:131], v[94:95], v[44:45]
	v_fmac_f64_e32 v[138:139], v[82:83], v[140:141]
	v_add_f64 v[72:73], v[20:21], v[16:17]
	v_add_f64 v[74:75], v[22:23], v[18:19]
	v_add_f64 v[82:83], v[20:21], -v[16:17]
	v_add_f64 v[94:95], v[12:13], -v[20:21]
	v_add_f64 v[26:27], v[30:31], v[26:27]
	v_add_f64 v[20:21], v[60:61], v[24:25]
	v_mul_f64 v[124:125], v[98:99], v[52:53]
	v_mul_f64 v[132:133], v[86:87], v[42:43]
	v_fmac_f64_e32 v[126:127], v[98:99], v[50:51]
	v_fmac_f64_e32 v[134:135], v[86:87], v[40:41]
	v_add_f64 v[68:69], v[32:33], -v[64:65]
	v_add_f64 v[70:71], v[34:35], -v[66:67]
	;; [unrolled: 1-line block ×9, first 2 shown]
	v_add_f64 v[14:15], v[74:75], v[14:15]
	v_add_f64 v[22:23], v[62:63], v[26:27]
	v_mul_f64 v[74:75], v[82:83], s[20:21]
	v_mov_b64_e32 v[82:83], v[20:21]
	v_add_f64 v[16:17], v[16:17], -v[12:13]
	v_mul_f64 v[28:29], v[64:65], s[16:17]
	v_mul_f64 v[30:31], v[66:67], s[16:17]
	;; [unrolled: 1-line block ×5, first 2 shown]
	v_fmac_f64_e32 v[82:83], s[22:23], v[24:25]
	v_mov_b64_e32 v[24:25], v[22:23]
	v_mul_f64 v[116:117], v[102:103], v[38:39]
	v_mul_f64 v[118:119], v[100:101], v[38:39]
	;; [unrolled: 1-line block ×4, first 2 shown]
	v_add_f64 v[12:13], v[72:73], v[12:13]
	v_mul_f64 v[72:73], v[86:87], s[20:21]
	v_mul_f64 v[64:65], v[16:17], s[18:19]
	v_fmac_f64_e32 v[24:25], s[22:23], v[26:27]
	v_fma_f64 v[26:27], v[68:69], s[24:25], -v[60:61]
	v_fma_f64 v[60:61], v[70:71], s[24:25], -v[62:63]
	;; [unrolled: 1-line block ×6, first 2 shown]
	v_fmac_f64_e32 v[118:119], v[102:103], v[36:37]
	v_fma_f64 v[78:79], v[104:105], v[54:55], -v[120:121]
	v_fmac_f64_e32 v[122:123], v[106:107], v[54:55]
	v_fma_f64 v[84:85], v[84:85], v[40:41], -v[132:133]
	v_fma_f64 v[80:81], v[80:81], v[140:141], -v[136:137]
	v_fmac_f64_e32 v[28:29], s[0:1], v[32:33]
	v_fma_f64 v[32:33], v[70:71], s[26:27], -v[30:31]
	v_fmac_f64_e32 v[30:31], s[0:1], v[34:35]
	v_fmac_f64_e32 v[74:75], s[28:29], v[94:95]
	v_fma_f64 v[18:19], v[18:19], s[18:19], -v[72:73]
	v_fmac_f64_e32 v[72:73], s[28:29], v[98:99]
	v_fma_f64 v[70:71], v[94:95], s[34:35], -v[64:65]
	v_add_f64 v[60:61], v[60:61], v[24:25]
	v_add_f64 v[62:63], v[62:63], v[82:83]
	v_fmac_f64_e32 v[16:17], s[30:31], v[12:13]
	v_fmac_f64_e32 v[68:69], s[30:31], v[14:15]
	v_fma_f64 v[96:97], v[96:97], v[50:51], -v[124:125]
	v_fma_f64 v[92:93], v[92:93], v[44:45], -v[128:129]
	v_add_f64 v[86:87], v[28:29], v[82:83]
	v_add_f64 v[94:95], v[30:31], v[24:25]
	;; [unrolled: 1-line block ×4, first 2 shown]
	v_fmac_f64_e32 v[74:75], s[30:31], v[12:13]
	v_fmac_f64_e32 v[72:73], s[30:31], v[14:15]
	;; [unrolled: 1-line block ×4, first 2 shown]
	v_add_f64 v[28:29], v[68:69], v[62:63]
	v_add_f64 v[34:35], v[16:17], v[60:61]
	v_add_f64 v[66:67], v[60:61], -v[16:17]
	v_add_f64 v[68:69], v[62:63], -v[68:69]
	v_add_f64 v[12:13], v[76:77], v[80:81]
	v_add_f64 v[14:15], v[118:119], v[138:139]
	;; [unrolled: 1-line block ×5, first 2 shown]
	v_add_f64 v[26:27], v[94:95], -v[74:75]
	v_add_f64 v[30:31], v[82:83], -v[70:71]
	;; [unrolled: 1-line block ×3, first 2 shown]
	v_add_f64 v[64:65], v[18:19], v[64:65]
	v_add_f64 v[70:71], v[70:71], v[82:83]
	v_add_f64 v[72:73], v[86:87], -v[72:73]
	v_add_f64 v[74:75], v[74:75], v[94:95]
	v_add_f64 v[16:17], v[76:77], -v[80:81]
	v_add_f64 v[18:19], v[118:119], -v[138:139]
	;; [unrolled: 1-line block ×4, first 2 shown]
	v_add_f64 v[80:81], v[96:97], v[92:93]
	v_add_f64 v[82:83], v[126:127], v[130:131]
	v_add_f64 v[84:85], v[92:93], -v[96:97]
	v_add_f64 v[86:87], v[130:131], -v[126:127]
	v_add_f64 v[92:93], v[60:61], v[12:13]
	v_add_f64 v[94:95], v[62:63], v[14:15]
	v_add_f64 v[96:97], v[60:61], -v[12:13]
	v_add_f64 v[98:99], v[62:63], -v[14:15]
	v_add_f64 v[12:13], v[12:13], -v[80:81]
	v_add_f64 v[14:15], v[14:15], -v[82:83]
	v_add_f64 v[100:101], v[80:81], -v[60:61]
	v_add_f64 v[102:103], v[82:83], -v[62:63]
	v_add_f64 v[60:61], v[84:85], v[76:77]
	v_add_f64 v[62:63], v[86:87], v[78:79]
	v_add_f64 v[104:105], v[84:85], -v[76:77]
	v_add_f64 v[106:107], v[86:87], -v[78:79]
	;; [unrolled: 1-line block ×4, first 2 shown]
	v_add_f64 v[80:81], v[80:81], v[92:93]
	v_add_f64 v[82:83], v[82:83], v[94:95]
	v_add_f64 v[84:85], v[16:17], -v[84:85]
	v_add_f64 v[86:87], v[18:19], -v[86:87]
	v_add_f64 v[92:93], v[60:61], v[16:17]
	v_add_f64 v[94:95], v[62:63], v[18:19]
	;; [unrolled: 1-line block ×4, first 2 shown]
	v_mul_f64 v[16:17], v[12:13], s[16:17]
	v_mul_f64 v[18:19], v[14:15], s[16:17]
	;; [unrolled: 1-line block ×8, first 2 shown]
	v_fma_f64 v[80:81], s[22:23], v[80:81], v[60:61]
	v_fma_f64 v[82:83], s[22:23], v[82:83], v[62:63]
	;; [unrolled: 1-line block ×3, first 2 shown]
	v_fma_f64 v[108:109], v[96:97], s[24:25], -v[14:15]
	v_fma_f64 v[88:89], v[98:99], s[24:25], -v[88:89]
	;; [unrolled: 1-line block ×4, first 2 shown]
	v_fmac_f64_e32 v[18:19], s[0:1], v[102:103]
	v_fma_f64 v[14:15], s[28:29], v[84:85], v[90:91]
	v_fma_f64 v[76:77], v[76:77], s[18:19], -v[90:91]
	v_fma_f64 v[78:79], v[78:79], s[18:19], -v[12:13]
	v_fmac_f64_e32 v[12:13], s[28:29], v[86:87]
	v_fma_f64 v[84:85], v[84:85], s[34:35], -v[104:105]
	v_fma_f64 v[86:87], v[86:87], s[34:35], -v[106:107]
	v_accvgpr_write_b32 a40, v156
	v_accvgpr_write_b32 a32, v148
	;; [unrolled: 1-line block ×11, first 2 shown]
	v_add_f64 v[16:17], v[100:101], v[80:81]
	v_add_f64 v[18:19], v[18:19], v[82:83]
	;; [unrolled: 1-line block ×6, first 2 shown]
	v_fmac_f64_e32 v[14:15], s[30:31], v[92:93]
	v_fmac_f64_e32 v[12:13], s[30:31], v[94:95]
	v_fmac_f64_e32 v[76:77], s[30:31], v[92:93]
	v_fmac_f64_e32 v[78:79], s[30:31], v[94:95]
	v_fmac_f64_e32 v[84:85], s[30:31], v[92:93]
	v_fmac_f64_e32 v[86:87], s[30:31], v[94:95]
	v_accvgpr_write_b32 a41, v157
	v_accvgpr_write_b32 a42, v158
	;; [unrolled: 1-line block ×33, first 2 shown]
	v_add_f64 v[92:93], v[86:87], v[80:81]
	v_add_f64 v[94:95], v[82:83], -v[84:85]
	v_add_f64 v[96:97], v[90:91], -v[78:79]
	v_add_f64 v[98:99], v[76:77], v[88:89]
	v_add_f64 v[100:101], v[78:79], v[90:91]
	v_add_f64 v[102:103], v[88:89], -v[76:77]
	v_add_f64 v[104:105], v[80:81], -v[86:87]
	v_add_f64 v[106:107], v[84:85], v[82:83]
	v_add_f64 v[108:109], v[16:17], -v[12:13]
	v_add_f64 v[110:111], v[14:15], v[18:19]
	ds_write_b128 v58, v[20:23]
	ds_write_b128 v58, v[24:27] offset:272
	ds_write_b128 v58, v[28:31] offset:544
	;; [unrolled: 1-line block ×6, first 2 shown]
	s_mov_b64 s[0:1], exec
	v_accvgpr_read_b32 v39, a5
	s_and_b64 s[16:17], s[0:1], s[2:3]
	v_accvgpr_read_b32 v38, a4
	v_accvgpr_read_b32 v37, a3
	;; [unrolled: 1-line block ×3, first 2 shown]
	s_mov_b64 exec, s[16:17]
	s_cbranch_execz .LBB0_11
; %bb.10:
	v_mul_u32_u24_e32 v0, 0x77, v186
	v_add_lshl_u32 v0, v0, v187, 4
	v_add_f64 v[14:15], v[18:19], -v[14:15]
	v_add_f64 v[12:13], v[12:13], v[16:17]
	ds_write_b128 v0, v[60:63]
	ds_write_b128 v0, v[12:15] offset:272
	ds_write_b128 v0, v[92:95] offset:544
	;; [unrolled: 1-line block ×6, first 2 shown]
.LBB0_11:
	s_or_b64 exec, exec, s[0:1]
	v_lshlrev_b32_e32 v0, 7, v201
	s_waitcnt lgkmcnt(0)
	s_barrier
	global_load_dwordx4 v[72:75], v0, s[6:7] offset:1632
	global_load_dwordx4 v[68:71], v0, s[6:7] offset:1648
	;; [unrolled: 1-line block ×8, first 2 shown]
	ds_read_b128 v[140:143], v200
	ds_read_b128 v[12:15], v200 offset:1904
	ds_read_b128 v[16:19], v200 offset:3808
	;; [unrolled: 1-line block ×8, first 2 shown]
	s_mov_b32 s18, 0xa2cf5039
	s_mov_b32 s1, 0x3fe491b7
	;; [unrolled: 1-line block ×16, first 2 shown]
	s_waitcnt vmcnt(7) lgkmcnt(7)
	v_mul_f64 v[120:121], v[14:15], v[74:75]
	v_mul_f64 v[122:123], v[12:13], v[74:75]
	s_waitcnt vmcnt(6) lgkmcnt(6)
	v_mul_f64 v[124:125], v[18:19], v[70:71]
	s_waitcnt vmcnt(4) lgkmcnt(4)
	v_mul_f64 v[144:145], v[24:25], v[62:63]
	v_mul_f64 v[126:127], v[16:17], v[70:71]
	;; [unrolled: 1-line block ×4, first 2 shown]
	s_waitcnt vmcnt(0) lgkmcnt(0)
	v_mul_f64 v[152:153], v[118:119], v[78:79]
	v_mul_f64 v[154:155], v[116:117], v[78:79]
	;; [unrolled: 1-line block ×5, first 2 shown]
	v_fma_f64 v[12:13], v[12:13], v[72:73], -v[120:121]
	v_fmac_f64_e32 v[122:123], v[14:15], v[72:73]
	v_fmac_f64_e32 v[144:145], v[26:27], v[60:61]
	v_fma_f64 v[26:27], v[116:117], v[76:77], -v[152:153]
	v_fmac_f64_e32 v[154:155], v[118:119], v[76:77]
	v_mul_f64 v[130:131], v[20:21], v[66:67]
	v_mul_f64 v[146:147], v[28:29], v[90:91]
	;; [unrolled: 1-line block ×4, first 2 shown]
	v_fma_f64 v[14:15], v[16:17], v[68:69], -v[124:125]
	v_fmac_f64_e32 v[126:127], v[18:19], v[68:69]
	v_fma_f64 v[16:17], v[20:21], v[64:65], -v[128:129]
	v_fma_f64 v[18:19], v[24:25], v[60:61], -v[132:133]
	;; [unrolled: 1-line block ×4, first 2 shown]
	v_fmac_f64_e32 v[150:151], v[114:115], v[80:81]
	v_add_f64 v[28:29], v[12:13], v[26:27]
	v_add_f64 v[12:13], v[12:13], -v[26:27]
	v_add_f64 v[26:27], v[122:123], -v[154:155]
	v_fmac_f64_e32 v[130:131], v[22:23], v[64:65]
	v_fma_f64 v[22:23], v[32:33], v[84:85], -v[136:137]
	v_fmac_f64_e32 v[138:139], v[34:35], v[84:85]
	v_add_f64 v[32:33], v[14:15], v[24:25]
	v_add_f64 v[14:15], v[14:15], -v[24:25]
	v_add_f64 v[24:25], v[126:127], -v[150:151]
	v_mul_f64 v[118:119], v[26:27], s[0:1]
	v_fma_f64 v[112:113], s[18:19], v[28:29], v[140:141]
	v_fmac_f64_e32 v[146:147], v[30:31], v[88:89]
	v_add_f64 v[148:149], v[16:17], v[22:23]
	v_add_f64 v[16:17], v[16:17], -v[22:23]
	v_add_f64 v[22:23], v[130:131], -v[138:139]
	v_fmac_f64_e32 v[118:119], s[6:7], v[24:25]
	v_fmac_f64_e32 v[112:113], s[22:23], v[32:33]
	v_add_f64 v[34:35], v[126:127], v[150:151]
	v_add_f64 v[152:153], v[130:131], v[138:139]
	v_add_f64 v[130:131], v[144:145], -v[146:147]
	v_fmac_f64_e32 v[118:119], s[16:17], v[22:23]
	v_fmac_f64_e32 v[112:113], -0.5, v[148:149]
	v_add_f64 v[150:151], v[18:19], v[20:21]
	v_fmac_f64_e32 v[118:119], s[20:21], v[130:131]
	v_fmac_f64_e32 v[112:113], s[24:25], v[150:151]
	v_add_f64 v[30:31], v[122:123], v[154:155]
	v_add_f64 v[128:129], v[18:19], -v[20:21]
	v_mul_f64 v[116:117], v[12:13], s[0:1]
	v_add_f64 v[154:155], v[144:145], v[146:147]
	v_add_f64 v[112:113], v[118:119], v[112:113]
	s_mov_b32 s1, 0xbfe491b7
	v_fma_f64 v[114:115], s[18:19], v[30:31], v[142:143]
	v_fma_f64 v[120:121], -2.0, v[118:119], v[112:113]
	v_mul_f64 v[124:125], v[128:129], s[0:1]
	v_fma_f64 v[118:119], s[18:19], v[154:155], v[142:143]
	v_fmac_f64_e32 v[116:117], s[6:7], v[14:15]
	v_fmac_f64_e32 v[114:115], s[22:23], v[34:35]
	v_fmac_f64_e32 v[124:125], s[6:7], v[12:13]
	v_fmac_f64_e32 v[118:119], s[22:23], v[30:31]
	v_fmac_f64_e32 v[116:117], s[16:17], v[16:17]
	v_fmac_f64_e32 v[114:115], -0.5, v[152:153]
	v_fmac_f64_e32 v[124:125], s[26:27], v[16:17]
	v_fmac_f64_e32 v[118:119], -0.5, v[152:153]
	v_fmac_f64_e32 v[116:117], s[20:21], v[128:129]
	v_fmac_f64_e32 v[114:115], s[24:25], v[154:155]
	;; [unrolled: 1-line block ×4, first 2 shown]
	v_add_f64 v[114:115], v[114:115], -v[116:117]
	v_add_f64 v[118:119], v[118:119], -v[124:125]
	v_fma_f64 v[122:123], 2.0, v[116:117], v[114:115]
	v_mul_f64 v[126:127], v[130:131], s[0:1]
	v_fma_f64 v[116:117], s[18:19], v[150:151], v[140:141]
	v_fma_f64 v[134:135], 2.0, v[124:125], v[118:119]
	v_add_f64 v[124:125], v[128:129], v[12:13]
	v_mul_f64 v[128:129], v[128:129], s[6:7]
	v_fmac_f64_e32 v[126:127], s[6:7], v[26:27]
	v_fmac_f64_e32 v[116:117], s[22:23], v[28:29]
	v_add_f64 v[136:137], v[124:125], -v[14:15]
	v_fma_f64 v[14:15], v[14:15], s[0:1], -v[128:129]
	v_fmac_f64_e32 v[126:127], s[26:27], v[22:23]
	v_fmac_f64_e32 v[116:117], -0.5, v[148:149]
	v_add_f64 v[160:161], v[32:33], v[28:29]
	v_add_f64 v[162:163], v[34:35], v[30:31]
	v_fmac_f64_e32 v[14:15], s[16:17], v[16:17]
	v_fmac_f64_e32 v[126:127], s[20:21], v[24:25]
	;; [unrolled: 1-line block ×4, first 2 shown]
	v_add_f64 v[12:13], v[148:149], v[160:161]
	v_add_f64 v[16:17], v[152:153], v[162:163]
	;; [unrolled: 1-line block ×5, first 2 shown]
	v_fma_f64 v[132:133], -2.0, v[126:127], v[116:117]
	v_add_f64 v[126:127], v[130:131], v[26:27]
	v_mul_f64 v[130:131], v[130:131], s[6:7]
	v_add_f64 v[12:13], v[20:21], v[12:13]
	v_add_f64 v[16:17], v[146:147], v[16:17]
	v_add_f64 v[138:139], v[126:127], -v[24:25]
	v_add_f64 v[124:125], v[140:141], v[148:149]
	v_add_f64 v[126:127], v[142:143], v[152:153]
	v_fma_f64 v[24:25], v[24:25], s[0:1], -v[130:131]
	v_add_f64 v[128:129], v[140:141], v[12:13]
	v_add_f64 v[130:131], v[142:143], v[16:17]
	v_fmac_f64_e32 v[140:141], s[18:19], v[32:33]
	v_fmac_f64_e32 v[142:143], s[18:19], v[34:35]
	;; [unrolled: 1-line block ×4, first 2 shown]
	v_add_f64 v[164:165], v[150:151], v[160:161]
	v_add_f64 v[166:167], v[154:155], v[162:163]
	v_fmac_f64_e32 v[24:25], s[16:17], v[22:23]
	v_fmac_f64_e32 v[140:141], -0.5, v[148:149]
	v_fmac_f64_e32 v[142:143], -0.5, v[152:153]
	;; [unrolled: 1-line block ×4, first 2 shown]
	v_fmac_f64_e32 v[24:25], s[20:21], v[26:27]
	v_fmac_f64_e32 v[140:141], s[24:25], v[28:29]
	;; [unrolled: 1-line block ×3, first 2 shown]
	v_mul_f64 v[156:157], v[136:137], s[16:17]
	v_mul_f64 v[158:159], v[138:139], s[16:17]
	v_fmac_f64_e32 v[124:125], s[16:17], v[138:139]
	v_fmac_f64_e32 v[126:127], s[26:27], v[136:137]
	v_add_f64 v[140:141], v[24:25], v[140:141]
	v_add_f64 v[142:143], v[142:143], -v[14:15]
	v_fma_f64 v[136:137], -2.0, v[158:159], v[124:125]
	v_fma_f64 v[138:139], 2.0, v[156:157], v[126:127]
	v_fma_f64 v[144:145], -2.0, v[24:25], v[140:141]
	v_fma_f64 v[146:147], 2.0, v[14:15], v[142:143]
	ds_write_b128 v200, v[128:131]
	ds_write_b128 v200, v[112:115] offset:1904
	ds_write_b128 v200, v[116:119] offset:3808
	;; [unrolled: 1-line block ×8, first 2 shown]
	s_waitcnt lgkmcnt(0)
	s_barrier
	s_and_saveexec_b64 s[0:1], s[4:5]
	s_cbranch_execz .LBB0_13
; %bb.12:
	v_mov_b32_e32 v0, v201
	v_mov_b32_e32 v201, 0
	v_lshl_add_u64 v[12:13], s[12:13], 0, v[200:201]
	v_add_co_u32_e32 v18, vcc, 0x4000, v12
	ds_read_b128 v[14:17], v200
	ds_read_b128 v[148:151], v200 offset:16128
	v_addc_co_u32_e32 v19, vcc, 0, v13, vcc
	global_load_dwordx4 v[18:21], v[18:19], off offset:752
	s_mov_b64 s[6:7], 0x42f0
	v_lshl_add_u64 v[26:27], v[12:13], 0, s[6:7]
	s_movk_i32 s6, 0x5000
	v_mov_b32_e32 v201, v0
	s_waitcnt vmcnt(0) lgkmcnt(1)
	v_mul_f64 v[22:23], v[16:17], v[20:21]
	v_mul_f64 v[24:25], v[14:15], v[20:21]
	v_fma_f64 v[22:23], v[14:15], v[18:19], -v[22:23]
	v_fmac_f64_e32 v[24:25], v[16:17], v[18:19]
	global_load_dwordx4 v[18:21], v[26:27], off offset:1008
	ds_read_b128 v[14:17], v200 offset:1008
	ds_write_b128 v200, v[22:25]
	s_waitcnt vmcnt(0) lgkmcnt(1)
	v_mul_f64 v[22:23], v[16:17], v[20:21]
	v_mul_f64 v[24:25], v[14:15], v[20:21]
	v_fma_f64 v[22:23], v[14:15], v[18:19], -v[22:23]
	v_fmac_f64_e32 v[24:25], v[16:17], v[18:19]
	global_load_dwordx4 v[18:21], v[26:27], off offset:2016
	ds_read_b128 v[14:17], v200 offset:2016
	ds_write_b128 v200, v[22:25] offset:1008
	s_waitcnt vmcnt(0) lgkmcnt(1)
	v_mul_f64 v[22:23], v[16:17], v[20:21]
	v_mul_f64 v[24:25], v[14:15], v[20:21]
	v_fma_f64 v[22:23], v[14:15], v[18:19], -v[22:23]
	v_fmac_f64_e32 v[24:25], v[16:17], v[18:19]
	global_load_dwordx4 v[18:21], v[26:27], off offset:3024
	ds_read_b128 v[14:17], v200 offset:3024
	ds_write_b128 v200, v[22:25] offset:2016
	s_waitcnt vmcnt(0) lgkmcnt(1)
	v_mul_f64 v[22:23], v[16:17], v[20:21]
	v_mul_f64 v[24:25], v[14:15], v[20:21]
	v_fma_f64 v[22:23], v[14:15], v[18:19], -v[22:23]
	v_fmac_f64_e32 v[24:25], v[16:17], v[18:19]
	global_load_dwordx4 v[18:21], v[26:27], off offset:4032
	ds_read_b128 v[14:17], v200 offset:4032
	v_add_co_u32_e32 v26, vcc, s6, v12
	ds_write_b128 v200, v[22:25] offset:3024
	s_nop 0
	v_addc_co_u32_e32 v27, vcc, 0, v13, vcc
	s_movk_i32 s6, 0x6000
	s_waitcnt vmcnt(0) lgkmcnt(1)
	v_mul_f64 v[22:23], v[16:17], v[20:21]
	v_mul_f64 v[24:25], v[14:15], v[20:21]
	v_fma_f64 v[22:23], v[14:15], v[18:19], -v[22:23]
	v_fmac_f64_e32 v[24:25], v[16:17], v[18:19]
	global_load_dwordx4 v[18:21], v[26:27], off offset:1696
	ds_read_b128 v[14:17], v200 offset:5040
	ds_write_b128 v200, v[22:25] offset:4032
	s_waitcnt vmcnt(0) lgkmcnt(1)
	v_mul_f64 v[22:23], v[16:17], v[20:21]
	v_mul_f64 v[24:25], v[14:15], v[20:21]
	v_fma_f64 v[22:23], v[14:15], v[18:19], -v[22:23]
	v_fmac_f64_e32 v[24:25], v[16:17], v[18:19]
	global_load_dwordx4 v[18:21], v[26:27], off offset:2704
	ds_read_b128 v[14:17], v200 offset:6048
	ds_write_b128 v200, v[22:25] offset:5040
	s_waitcnt vmcnt(0) lgkmcnt(1)
	v_mul_f64 v[22:23], v[16:17], v[20:21]
	v_mul_f64 v[24:25], v[14:15], v[20:21]
	v_fma_f64 v[22:23], v[14:15], v[18:19], -v[22:23]
	v_fmac_f64_e32 v[24:25], v[16:17], v[18:19]
	global_load_dwordx4 v[18:21], v[26:27], off offset:3712
	ds_read_b128 v[14:17], v200 offset:7056
	v_add_co_u32_e32 v26, vcc, s6, v12
	ds_write_b128 v200, v[22:25] offset:6048
	s_nop 0
	v_addc_co_u32_e32 v27, vcc, 0, v13, vcc
	s_movk_i32 s6, 0x7000
	s_waitcnt vmcnt(0) lgkmcnt(1)
	v_mul_f64 v[22:23], v[16:17], v[20:21]
	v_mul_f64 v[24:25], v[14:15], v[20:21]
	v_fma_f64 v[22:23], v[14:15], v[18:19], -v[22:23]
	v_fmac_f64_e32 v[24:25], v[16:17], v[18:19]
	global_load_dwordx4 v[18:21], v[26:27], off offset:624
	ds_read_b128 v[14:17], v200 offset:8064
	ds_write_b128 v200, v[22:25] offset:7056
	s_waitcnt vmcnt(0) lgkmcnt(1)
	v_mul_f64 v[22:23], v[16:17], v[20:21]
	v_mul_f64 v[24:25], v[14:15], v[20:21]
	v_fma_f64 v[22:23], v[14:15], v[18:19], -v[22:23]
	v_fmac_f64_e32 v[24:25], v[16:17], v[18:19]
	global_load_dwordx4 v[18:21], v[26:27], off offset:1632
	ds_read_b128 v[14:17], v200 offset:9072
	ds_write_b128 v200, v[22:25] offset:8064
	;; [unrolled: 8-line block ×3, first 2 shown]
	s_waitcnt vmcnt(0) lgkmcnt(1)
	v_mul_f64 v[22:23], v[16:17], v[20:21]
	v_mul_f64 v[24:25], v[14:15], v[20:21]
	v_fma_f64 v[22:23], v[14:15], v[18:19], -v[22:23]
	v_fmac_f64_e32 v[24:25], v[16:17], v[18:19]
	global_load_dwordx4 v[18:21], v[26:27], off offset:3648
	ds_read_b128 v[14:17], v200 offset:11088
	v_add_co_u32_e32 v26, vcc, s6, v12
	ds_write_b128 v200, v[22:25] offset:10080
	s_nop 0
	v_addc_co_u32_e32 v27, vcc, 0, v13, vcc
	s_mov_b32 s6, 0x8000
	v_add_co_u32_e32 v12, vcc, s6, v12
	s_waitcnt vmcnt(0) lgkmcnt(1)
	v_mul_f64 v[22:23], v[16:17], v[20:21]
	v_mul_f64 v[24:25], v[14:15], v[20:21]
	v_fma_f64 v[22:23], v[14:15], v[18:19], -v[22:23]
	v_fmac_f64_e32 v[24:25], v[16:17], v[18:19]
	global_load_dwordx4 v[18:21], v[26:27], off offset:560
	ds_read_b128 v[14:17], v200 offset:12096
	v_addc_co_u32_e32 v13, vcc, 0, v13, vcc
	global_load_dwordx4 v[152:155], v[12:13], off offset:496
	ds_write_b128 v200, v[22:25] offset:11088
	s_waitcnt vmcnt(1) lgkmcnt(1)
	v_mul_f64 v[22:23], v[16:17], v[20:21]
	v_mul_f64 v[24:25], v[14:15], v[20:21]
	v_fma_f64 v[22:23], v[14:15], v[18:19], -v[22:23]
	v_fmac_f64_e32 v[24:25], v[16:17], v[18:19]
	global_load_dwordx4 v[18:21], v[26:27], off offset:1568
	ds_read_b128 v[14:17], v200 offset:13104
	ds_write_b128 v200, v[22:25] offset:12096
	s_waitcnt vmcnt(1)
	v_mul_f64 v[12:13], v[150:151], v[154:155]
	v_fma_f64 v[12:13], v[148:149], v[152:153], -v[12:13]
	s_waitcnt vmcnt(0) lgkmcnt(1)
	v_mul_f64 v[22:23], v[16:17], v[20:21]
	v_mul_f64 v[24:25], v[14:15], v[20:21]
	v_fma_f64 v[22:23], v[14:15], v[18:19], -v[22:23]
	v_fmac_f64_e32 v[24:25], v[16:17], v[18:19]
	global_load_dwordx4 v[18:21], v[26:27], off offset:2576
	ds_read_b128 v[14:17], v200 offset:14112
	ds_write_b128 v200, v[22:25] offset:13104
	s_waitcnt vmcnt(0) lgkmcnt(1)
	v_mul_f64 v[22:23], v[16:17], v[20:21]
	v_mul_f64 v[24:25], v[14:15], v[20:21]
	v_fma_f64 v[22:23], v[14:15], v[18:19], -v[22:23]
	v_fmac_f64_e32 v[24:25], v[16:17], v[18:19]
	global_load_dwordx4 v[18:21], v[26:27], off offset:3584
	ds_read_b128 v[14:17], v200 offset:15120
	ds_write_b128 v200, v[22:25] offset:14112
	s_waitcnt vmcnt(0) lgkmcnt(1)
	v_mul_f64 v[22:23], v[16:17], v[20:21]
	v_fma_f64 v[22:23], v[14:15], v[18:19], -v[22:23]
	v_mul_f64 v[24:25], v[14:15], v[20:21]
	v_mul_f64 v[14:15], v[148:149], v[154:155]
	v_fmac_f64_e32 v[24:25], v[16:17], v[18:19]
	v_fmac_f64_e32 v[14:15], v[150:151], v[152:153]
	ds_write_b128 v200, v[22:25] offset:15120
	ds_write_b128 v200, v[12:15] offset:16128
.LBB0_13:
	s_or_b64 exec, exec, s[0:1]
	s_waitcnt lgkmcnt(0)
	s_barrier
	s_and_saveexec_b64 s[0:1], s[4:5]
	s_cbranch_execz .LBB0_15
; %bb.14:
	ds_read_b128 v[128:131], v200
	ds_read_b128 v[112:115], v200 offset:1008
	ds_read_b128 v[116:119], v200 offset:2016
	;; [unrolled: 1-line block ×16, first 2 shown]
.LBB0_15:
	s_or_b64 exec, exec, s[0:1]
	s_mov_b32 s18, 0xeb564b22
	s_waitcnt lgkmcnt(0)
	v_add_f64 v[208:209], v[114:115], -v[6:7]
	s_mov_b32 s0, 0x3259b75e
	s_mov_b32 s19, 0xbfefdd0d
	;; [unrolled: 1-line block ×3, first 2 shown]
	v_add_f64 v[204:205], v[112:113], v[4:5]
	v_add_f64 v[206:207], v[114:115], v[6:7]
	s_mov_b32 s1, 0x3fb79ee6
	v_mul_f64 v[44:45], v[208:209], s[18:19]
	s_mov_b32 s22, 0x923c349f
	s_mov_b32 s31, 0xbfc7851a
	s_mov_b32 s28, 0x7faef3
	v_add_f64 v[216:217], v[118:119], -v[10:11]
	v_add_f64 v[210:211], v[112:113], -v[4:5]
	v_mul_f64 v[40:41], v[206:207], s[0:1]
	v_fma_f64 v[12:13], v[204:205], s[0:1], -v[44:45]
	s_mov_b32 s6, 0xc61f0d01
	s_mov_b32 s23, 0xbfeec746
	;; [unrolled: 1-line block ×5, first 2 shown]
	v_add_f64 v[212:213], v[116:117], v[8:9]
	v_add_f64 v[214:215], v[118:119], v[10:11]
	v_mul_f64 v[52:53], v[216:217], s[30:31]
	v_add_f64 v[12:13], v[128:129], v[12:13]
	v_fma_f64 v[14:15], s[18:19], v[210:211], v[40:41]
	s_mov_b32 s7, 0xbfd183b1
	v_mul_f64 v[42:43], v[208:209], s[22:23]
	s_mov_b32 s24, 0x6c9a05f6
	s_mov_b32 s27, 0xbfe0d888
	;; [unrolled: 1-line block ×5, first 2 shown]
	v_add_f64 v[218:219], v[116:117], -v[8:9]
	v_mul_f64 v[194:195], v[214:215], s[28:29]
	v_fma_f64 v[152:153], v[212:213], s[28:29], -v[52:53]
	v_add_f64 v[14:15], v[130:131], v[14:15]
	v_mul_f64 v[50:51], v[206:207], s[6:7]
	v_fma_f64 v[16:17], v[204:205], s[6:7], -v[42:43]
	s_mov_b32 s16, 0x6ed5f1bb
	s_mov_b32 s25, 0xbfe9895b
	v_add_f64 v[12:13], v[152:153], v[12:13]
	v_fma_f64 v[152:153], s[30:31], v[218:219], v[194:195]
	v_mul_f64 v[48:49], v[216:217], s[36:37]
	v_mul_f64 v[0:1], v[214:215], s[20:21]
	v_add_f64 v[16:17], v[128:129], v[16:17]
	v_fma_f64 v[18:19], s[22:23], v[210:211], v[50:51]
	s_mov_b32 s17, 0xbfe348c8
	v_mul_f64 v[46:47], v[208:209], s[24:25]
	v_add_f64 v[14:15], v[152:153], v[14:15]
	v_fma_f64 v[152:153], v[212:213], s[20:21], -v[48:49]
	v_accvgpr_write_b32 a3, v1
	s_mov_b32 s47, 0x3feec746
	s_mov_b32 s46, s22
	v_add_f64 v[18:19], v[130:131], v[18:19]
	v_mul_f64 v[198:199], v[206:207], s[16:17]
	v_fma_f64 v[20:21], v[204:205], s[16:17], -v[46:47]
	v_add_f64 v[16:17], v[152:153], v[16:17]
	v_accvgpr_write_b32 a2, v0
	v_fma_f64 v[152:153], s[36:37], v[218:219], v[0:1]
	v_mul_f64 v[0:1], v[216:217], s[46:47]
	v_add_f64 v[20:21], v[128:129], v[20:21]
	v_fma_f64 v[22:23], s[24:25], v[210:211], v[198:199]
	v_add_f64 v[18:19], v[152:153], v[18:19]
	v_mul_f64 v[2:3], v[214:215], s[6:7]
	v_fma_f64 v[152:153], v[212:213], s[6:7], -v[0:1]
	s_mov_b32 s48, 0x7c9e640b
	v_add_f64 v[22:23], v[130:131], v[22:23]
	v_mul_f64 v[24:25], v[208:209], s[26:27]
	v_add_f64 v[20:21], v[152:153], v[20:21]
	v_fma_f64 v[152:153], s[46:47], v[218:219], v[2:3]
	s_mov_b32 s49, 0x3feca52d
	s_mov_b32 s34, 0x2b2883cd
	v_fma_f64 v[26:27], s[20:21], v[204:205], v[24:25]
	v_add_f64 v[22:23], v[152:153], v[22:23]
	v_mul_f64 v[152:153], v[216:217], s[48:49]
	s_mov_b32 s35, 0x3fdc86fa
	v_add_f64 v[26:27], v[128:129], v[26:27]
	v_mul_f64 v[28:29], v[206:207], s[20:21]
	v_fma_f64 v[24:25], v[204:205], s[20:21], -v[24:25]
	v_fma_f64 v[154:155], s[34:35], v[212:213], v[152:153]
	s_mov_b32 s52, 0x5d8e7cdc
	v_fma_f64 v[30:31], s[36:37], v[210:211], v[28:29]
	v_add_f64 v[24:25], v[128:129], v[24:25]
	v_fmac_f64_e32 v[28:29], s[26:27], v[210:211]
	v_mul_f64 v[32:33], v[208:209], s[30:31]
	v_add_f64 v[26:27], v[154:155], v[26:27]
	v_mul_f64 v[154:155], v[214:215], s[34:35]
	s_mov_b32 s41, 0xbfeca52d
	s_mov_b32 s40, s48
	v_fma_f64 v[152:153], v[212:213], s[34:35], -v[152:153]
	s_mov_b32 s53, 0x3fd71e95
	s_mov_b32 s38, 0x370991
	v_add_f64 v[28:29], v[130:131], v[28:29]
	v_fma_f64 v[34:35], s[28:29], v[204:205], v[32:33]
	v_fma_f64 v[32:33], v[204:205], s[28:29], -v[32:33]
	v_accvgpr_write_b32 a13, v1
	v_fma_f64 v[156:157], s[40:41], v[218:219], v[154:155]
	v_add_f64 v[24:25], v[152:153], v[24:25]
	v_fmac_f64_e32 v[154:155], s[48:49], v[218:219]
	v_mul_f64 v[152:153], v[216:217], s[52:53]
	s_mov_b32 s39, 0x3fedd6d0
	v_add_f64 v[222:223], v[126:127], -v[38:39]
	v_add_f64 v[32:33], v[128:129], v[32:33]
	v_accvgpr_write_b32 a12, v0
	v_accvgpr_write_b32 a15, v3
	v_add_f64 v[28:29], v[154:155], v[28:29]
	v_fma_f64 v[154:155], s[38:39], v[212:213], v[152:153]
	v_fma_f64 v[152:153], v[212:213], s[38:39], -v[152:153]
	v_add_f64 v[202:203], v[124:125], v[36:37]
	v_add_f64 v[220:221], v[126:127], v[38:39]
	v_mul_f64 v[0:1], v[222:223], s[46:47]
	s_mov_b32 s56, 0x2a9d6da3
	v_accvgpr_write_b32 a14, v2
	v_add_f64 v[32:33], v[152:153], v[32:33]
	v_add_f64 v[224:225], v[124:125], -v[36:37]
	v_mul_f64 v[2:3], v[220:221], s[6:7]
	v_accvgpr_write_b32 a5, v1
	v_fma_f64 v[152:153], v[202:203], s[6:7], -v[0:1]
	s_mov_b32 s42, 0x75d4884
	s_mov_b32 s57, 0x3fe58eea
	v_accvgpr_write_b32 a4, v0
	v_add_f64 v[12:13], v[152:153], v[12:13]
	v_accvgpr_write_b32 a7, v3
	v_fma_f64 v[152:153], s[46:47], v[224:225], v[2:3]
	s_mov_b32 s43, 0x3fe7a5f6
	v_mul_f64 v[0:1], v[222:223], s[56:57]
	s_mov_b32 s45, 0xbfd71e95
	s_mov_b32 s44, s52
	v_accvgpr_write_b32 a6, v2
	v_add_f64 v[14:15], v[152:153], v[14:15]
	v_mul_f64 v[2:3], v[220:221], s[42:43]
	v_accvgpr_write_b32 a67, v1
	v_fma_f64 v[152:153], v[202:203], s[42:43], -v[0:1]
	v_accvgpr_write_b32 a66, v0
	v_add_f64 v[16:17], v[152:153], v[16:17]
	v_accvgpr_write_b32 a57, v3
	v_fma_f64 v[152:153], s[56:57], v[224:225], v[2:3]
	v_mul_f64 v[0:1], v[222:223], s[44:45]
	v_add_f64 v[34:35], v[128:129], v[34:35]
	v_mul_f64 v[148:149], v[206:207], s[28:29]
	s_mov_b32 s51, 0x3fc7851a
	s_mov_b32 s50, s30
	v_accvgpr_write_b32 a56, v2
	v_add_f64 v[18:19], v[152:153], v[18:19]
	v_mul_f64 v[2:3], v[220:221], s[38:39]
	v_fma_f64 v[152:153], v[202:203], s[38:39], -v[0:1]
	v_add_f64 v[30:31], v[130:131], v[30:31]
	v_fma_f64 v[150:151], s[50:51], v[210:211], v[148:149]
	v_fmac_f64_e32 v[148:149], s[30:31], v[210:211]
	v_add_f64 v[34:35], v[154:155], v[34:35]
	v_mul_f64 v[154:155], v[214:215], s[38:39]
	v_add_f64 v[20:21], v[152:153], v[20:21]
	v_fma_f64 v[152:153], s[44:45], v[224:225], v[2:3]
	v_add_f64 v[148:149], v[130:131], v[148:149]
	v_add_f64 v[30:31], v[156:157], v[30:31]
	v_fma_f64 v[156:157], s[44:45], v[218:219], v[154:155]
	v_fmac_f64_e32 v[154:155], s[52:53], v[218:219]
	v_add_f64 v[22:23], v[152:153], v[22:23]
	v_mul_f64 v[152:153], v[222:223], s[18:19]
	v_add_f64 v[148:149], v[154:155], v[148:149]
	v_fma_f64 v[154:155], s[0:1], v[202:203], v[152:153]
	v_add_f64 v[150:151], v[130:131], v[150:151]
	v_add_f64 v[26:27], v[154:155], v[26:27]
	v_mul_f64 v[154:155], v[220:221], s[0:1]
	s_mov_b32 s59, 0x3fefdd0d
	s_mov_b32 s58, s18
	v_fma_f64 v[152:153], v[202:203], s[0:1], -v[152:153]
	v_add_f64 v[150:151], v[156:157], v[150:151]
	v_accvgpr_write_b32 a53, v1
	v_fma_f64 v[156:157], s[58:59], v[224:225], v[154:155]
	v_add_f64 v[24:25], v[152:153], v[24:25]
	v_fmac_f64_e32 v[154:155], s[18:19], v[224:225]
	v_mul_f64 v[152:153], v[222:223], s[26:27]
	v_add_f64 v[230:231], v[142:143], -v[110:111]
	v_accvgpr_write_b32 a52, v0
	v_accvgpr_write_b32 a55, v3
	v_add_f64 v[28:29], v[154:155], v[28:29]
	v_fma_f64 v[154:155], s[20:21], v[202:203], v[152:153]
	v_fma_f64 v[152:153], v[202:203], s[20:21], -v[152:153]
	v_add_f64 v[226:227], v[140:141], v[108:109]
	v_add_f64 v[228:229], v[142:143], v[110:111]
	v_mul_f64 v[0:1], v[230:231], s[52:53]
	v_accvgpr_write_b32 a54, v2
	v_add_f64 v[32:33], v[152:153], v[32:33]
	v_add_f64 v[232:233], v[140:141], -v[108:109]
	v_mul_f64 v[2:3], v[228:229], s[38:39]
	v_accvgpr_write_b32 a69, v1
	v_fma_f64 v[152:153], v[226:227], s[38:39], -v[0:1]
	v_accvgpr_write_b32 a68, v0
	v_add_f64 v[12:13], v[152:153], v[12:13]
	v_accvgpr_write_b32 a71, v3
	v_fma_f64 v[152:153], s[52:53], v[232:233], v[2:3]
	v_mul_f64 v[0:1], v[230:231], s[40:41]
	v_accvgpr_write_b32 a70, v2
	v_add_f64 v[14:15], v[152:153], v[14:15]
	v_mul_f64 v[2:3], v[228:229], s[34:35]
	v_accvgpr_write_b32 a59, v1
	v_fma_f64 v[152:153], v[226:227], s[34:35], -v[0:1]
	v_accvgpr_write_b32 a58, v0
	v_add_f64 v[16:17], v[152:153], v[16:17]
	v_accvgpr_write_b32 a73, v3
	v_fma_f64 v[152:153], s[40:41], v[232:233], v[2:3]
	v_mul_f64 v[0:1], v[230:231], s[26:27]
	v_accvgpr_write_b32 a72, v2
	v_add_f64 v[18:19], v[152:153], v[18:19]
	v_mul_f64 v[2:3], v[228:229], s[20:21]
	v_fma_f64 v[152:153], v[226:227], s[20:21], -v[0:1]
	v_add_f64 v[34:35], v[154:155], v[34:35]
	v_mul_f64 v[154:155], v[220:221], s[20:21]
	v_add_f64 v[20:21], v[152:153], v[20:21]
	v_fma_f64 v[152:153], s[26:27], v[232:233], v[2:3]
	s_mov_b32 s61, 0x3fe9895b
	s_mov_b32 s60, s24
	v_add_f64 v[30:31], v[156:157], v[30:31]
	v_fma_f64 v[156:157], s[36:37], v[224:225], v[154:155]
	v_fmac_f64_e32 v[154:155], s[26:27], v[224:225]
	v_add_f64 v[22:23], v[152:153], v[22:23]
	v_mul_f64 v[152:153], v[230:231], s[60:61]
	v_add_f64 v[148:149], v[154:155], v[148:149]
	v_fma_f64 v[154:155], s[16:17], v[226:227], v[152:153]
	v_add_f64 v[26:27], v[154:155], v[26:27]
	v_mul_f64 v[154:155], v[228:229], s[16:17]
	v_fma_f64 v[152:153], v[226:227], s[16:17], -v[152:153]
	v_add_f64 v[150:151], v[156:157], v[150:151]
	v_accvgpr_write_b32 a61, v1
	v_fma_f64 v[156:157], s[24:25], v[232:233], v[154:155]
	v_add_f64 v[24:25], v[152:153], v[24:25]
	v_fmac_f64_e32 v[154:155], s[60:61], v[232:233]
	v_mul_f64 v[152:153], v[230:231], s[56:57]
	v_add_f64 v[238:239], v[146:147], -v[106:107]
	v_accvgpr_write_b32 a60, v0
	v_accvgpr_write_b32 a81, v3
	v_add_f64 v[28:29], v[154:155], v[28:29]
	v_fma_f64 v[154:155], s[42:43], v[226:227], v[152:153]
	v_fma_f64 v[152:153], v[226:227], s[42:43], -v[152:153]
	v_add_f64 v[234:235], v[144:145], v[104:105]
	v_add_f64 v[236:237], v[146:147], v[106:107]
	v_mul_f64 v[0:1], v[238:239], s[40:41]
	v_accvgpr_write_b32 a80, v2
	v_add_f64 v[32:33], v[152:153], v[32:33]
	v_add_f64 v[240:241], v[144:145], -v[104:105]
	v_mul_f64 v[2:3], v[236:237], s[34:35]
	v_accvgpr_write_b32 a75, v1
	v_fma_f64 v[152:153], v[234:235], s[34:35], -v[0:1]
	v_accvgpr_write_b32 a74, v0
	v_add_f64 v[12:13], v[152:153], v[12:13]
	v_accvgpr_write_b32 a77, v3
	v_fma_f64 v[152:153], s[40:41], v[240:241], v[2:3]
	v_mul_f64 v[0:1], v[238:239], s[30:31]
	v_accvgpr_write_b32 a76, v2
	v_add_f64 v[14:15], v[152:153], v[14:15]
	v_mul_f64 v[2:3], v[236:237], s[28:29]
	v_accvgpr_write_b32 a79, v1
	v_fma_f64 v[152:153], v[234:235], s[28:29], -v[0:1]
	v_accvgpr_write_b32 a78, v0
	v_add_f64 v[16:17], v[152:153], v[16:17]
	v_fma_f64 v[152:153], s[30:31], v[240:241], v[2:3]
	v_mul_f64 v[0:1], v[238:239], s[58:59]
	v_add_f64 v[18:19], v[152:153], v[18:19]
	v_mul_f64 v[192:193], v[236:237], s[0:1]
	v_fma_f64 v[152:153], v[234:235], s[0:1], -v[0:1]
	v_add_f64 v[34:35], v[154:155], v[34:35]
	v_mul_f64 v[154:155], v[228:229], s[42:43]
	s_mov_b32 s55, 0xbfe58eea
	s_mov_b32 s54, s56
	v_add_f64 v[20:21], v[152:153], v[20:21]
	v_fma_f64 v[152:153], s[58:59], v[240:241], v[192:193]
	v_add_f64 v[30:31], v[156:157], v[30:31]
	v_fma_f64 v[156:157], s[54:55], v[232:233], v[154:155]
	v_fmac_f64_e32 v[154:155], s[56:57], v[232:233]
	v_add_f64 v[22:23], v[152:153], v[22:23]
	v_mul_f64 v[152:153], v[238:239], s[44:45]
	v_add_f64 v[148:149], v[154:155], v[148:149]
	v_fma_f64 v[154:155], s[38:39], v[234:235], v[152:153]
	v_add_f64 v[26:27], v[154:155], v[26:27]
	v_mul_f64 v[154:155], v[236:237], s[38:39]
	v_fma_f64 v[152:153], v[234:235], s[38:39], -v[152:153]
	v_add_f64 v[150:151], v[156:157], v[150:151]
	v_accvgpr_write_b32 a89, v1
	v_fma_f64 v[156:157], s[52:53], v[240:241], v[154:155]
	v_add_f64 v[24:25], v[152:153], v[24:25]
	v_fmac_f64_e32 v[154:155], s[44:45], v[240:241]
	v_mul_f64 v[152:153], v[238:239], s[24:25]
	v_add_f64 v[252:253], v[138:139], -v[102:103]
	v_accvgpr_write_b32 a85, v3
	v_accvgpr_write_b32 a88, v0
	v_add_f64 v[28:29], v[154:155], v[28:29]
	v_fma_f64 v[154:155], s[16:17], v[234:235], v[152:153]
	v_fma_f64 v[152:153], v[234:235], s[16:17], -v[152:153]
	v_add_f64 v[244:245], v[136:137], v[100:101]
	v_add_f64 v[250:251], v[138:139], v[102:103]
	v_mul_f64 v[0:1], v[252:253], s[26:27]
	v_accvgpr_write_b32 a84, v2
	v_add_f64 v[32:33], v[152:153], v[32:33]
	v_add_f64 v[242:243], v[136:137], -v[100:101]
	v_mul_f64 v[2:3], v[250:251], s[20:21]
	v_accvgpr_write_b32 a83, v1
	v_fma_f64 v[152:153], v[244:245], s[20:21], -v[0:1]
	v_accvgpr_write_b32 a82, v0
	v_add_f64 v[152:153], v[152:153], v[12:13]
	v_fma_f64 v[12:13], s[26:27], v[242:243], v[2:3]
	v_mul_f64 v[0:1], v[252:253], s[58:59]
	v_add_f64 v[14:15], v[12:13], v[14:15]
	v_mul_f64 v[196:197], v[250:251], s[0:1]
	v_fma_f64 v[12:13], v[244:245], s[0:1], -v[0:1]
	v_add_f64 v[16:17], v[12:13], v[16:17]
	v_fma_f64 v[12:13], s[58:59], v[242:243], v[196:197]
	v_mul_f64 v[176:177], v[252:253], s[54:55]
	v_add_f64 v[18:19], v[12:13], v[18:19]
	v_mul_f64 v[178:179], v[250:251], s[42:43]
	v_fma_f64 v[12:13], v[244:245], s[42:43], -v[176:177]
	v_add_f64 v[34:35], v[154:155], v[34:35]
	v_mul_f64 v[154:155], v[236:237], s[16:17]
	v_add_f64 v[20:21], v[12:13], v[20:21]
	v_fma_f64 v[12:13], s[54:55], v[242:243], v[178:179]
	v_add_f64 v[30:31], v[156:157], v[30:31]
	v_fma_f64 v[156:157], s[60:61], v[240:241], v[154:155]
	v_fmac_f64_e32 v[154:155], s[24:25], v[240:241]
	v_add_f64 v[22:23], v[12:13], v[22:23]
	v_mul_f64 v[12:13], v[252:253], s[30:31]
	v_add_f64 v[148:149], v[154:155], v[148:149]
	v_fma_f64 v[154:155], s[28:29], v[244:245], v[12:13]
	v_add_f64 v[154:155], v[154:155], v[26:27]
	v_mul_f64 v[26:27], v[250:251], s[28:29]
	v_fma_f64 v[12:13], v[244:245], s[28:29], -v[12:13]
	v_add_f64 v[150:151], v[156:157], v[150:151]
	v_fma_f64 v[156:157], s[50:51], v[242:243], v[26:27]
	v_add_f64 v[24:25], v[12:13], v[24:25]
	v_fmac_f64_e32 v[26:27], s[30:31], v[242:243]
	v_mul_f64 v[12:13], v[252:253], s[48:49]
	v_add_f64 v[28:29], v[26:27], v[28:29]
	v_fma_f64 v[26:27], s[34:35], v[244:245], v[12:13]
	v_accvgpr_write_b32 a91, v1
	v_add_f64 v[34:35], v[26:27], v[34:35]
	v_mul_f64 v[26:27], v[250:251], s[34:35]
	v_add_f64 v[254:255], v[134:135], -v[98:99]
	v_accvgpr_write_b32 a87, v3
	v_accvgpr_write_b32 a90, v0
	v_add_f64 v[30:31], v[156:157], v[30:31]
	v_fma_f64 v[156:157], s[40:41], v[242:243], v[26:27]
	v_fma_f64 v[12:13], v[244:245], s[34:35], -v[12:13]
	v_fmac_f64_e32 v[26:27], s[48:49], v[242:243]
	v_add_f64 v[246:247], v[132:133], v[96:97]
	v_add_f64 v[248:249], v[134:135], v[98:99]
	v_mul_f64 v[0:1], v[254:255], s[60:61]
	v_accvgpr_write_b32 a86, v2
	v_add_f64 v[32:33], v[12:13], v[32:33]
	v_add_f64 v[148:149], v[26:27], v[148:149]
	v_add_f64 v[12:13], v[132:133], -v[96:97]
	v_mul_f64 v[2:3], v[248:249], s[16:17]
	v_fma_f64 v[26:27], v[246:247], s[16:17], -v[0:1]
	v_add_f64 v[152:153], v[26:27], v[152:153]
	v_fma_f64 v[26:27], s[60:61], v[12:13], v[2:3]
	v_mul_f64 v[180:181], v[254:255], s[44:45]
	v_add_f64 v[158:159], v[26:27], v[14:15]
	v_mul_f64 v[190:191], v[248:249], s[38:39]
	v_fma_f64 v[14:15], v[246:247], s[38:39], -v[180:181]
	v_add_f64 v[160:161], v[14:15], v[16:17]
	v_fma_f64 v[14:15], s[44:45], v[12:13], v[190:191]
	v_mul_f64 v[184:185], v[254:255], s[30:31]
	v_add_f64 v[162:163], v[14:15], v[18:19]
	v_mul_f64 v[26:27], v[248:249], s[28:29]
	v_fma_f64 v[14:15], v[246:247], s[28:29], -v[184:185]
	v_add_f64 v[168:169], v[14:15], v[20:21]
	v_fma_f64 v[14:15], s[30:31], v[12:13], v[26:27]
	v_accvgpr_write_b32 a95, v3
	v_add_f64 v[188:189], v[14:15], v[22:23]
	v_mul_f64 v[14:15], v[254:255], s[56:57]
	v_accvgpr_write_b32 a94, v2
	v_fma_f64 v[2:3], v[246:247], s[42:43], -v[14:15]
	v_fma_f64 v[16:17], s[42:43], v[246:247], v[14:15]
	v_add_f64 v[164:165], v[2:3], v[24:25]
	v_mul_f64 v[2:3], v[254:255], s[22:23]
	v_add_f64 v[182:183], v[16:17], v[154:155]
	v_mul_f64 v[16:17], v[248:249], s[42:43]
	v_fma_f64 v[14:15], s[6:7], v[246:247], v[2:3]
	v_fma_f64 v[18:19], s[54:55], v[12:13], v[16:17]
	v_fmac_f64_e32 v[16:17], s[56:57], v[12:13]
	v_add_f64 v[34:35], v[14:15], v[34:35]
	v_mul_f64 v[14:15], v[248:249], s[6:7]
	v_add_f64 v[150:151], v[156:157], v[150:151]
	v_accvgpr_write_b32 a93, v1
	v_add_f64 v[166:167], v[16:17], v[28:29]
	v_fma_f64 v[16:17], s[46:47], v[12:13], v[14:15]
	v_accvgpr_write_b32 a92, v0
	v_add_f64 v[0:1], v[18:19], v[30:31]
	v_add_f64 v[170:171], v[16:17], v[150:151]
	v_fmac_f64_e32 v[14:15], s[22:23], v[12:13]
	v_add_f64 v[16:17], v[122:123], v[94:95]
	v_add_f64 v[18:19], v[122:123], -v[94:95]
	v_fma_f64 v[2:3], v[246:247], s[6:7], -v[2:3]
	v_add_f64 v[174:175], v[14:15], v[148:149]
	v_add_f64 v[14:15], v[120:121], v[92:93]
	v_mul_f64 v[22:23], v[18:19], s[56:57]
	v_mul_f64 v[24:25], v[16:17], s[42:43]
	v_add_f64 v[172:173], v[2:3], v[32:33]
	v_add_f64 v[20:21], v[120:121], -v[92:93]
	v_fma_f64 v[2:3], v[14:15], s[42:43], -v[22:23]
	v_accvgpr_write_b32 a101, v25
	v_add_f64 v[156:157], v[2:3], v[152:153]
	v_accvgpr_write_b32 a100, v24
	v_fma_f64 v[2:3], s[56:57], v[20:21], v[24:25]
	v_mul_f64 v[24:25], v[18:19], s[24:25]
	v_add_f64 v[158:159], v[2:3], v[158:159]
	v_mul_f64 v[28:29], v[16:17], s[16:17]
	v_fma_f64 v[2:3], v[14:15], s[16:17], -v[24:25]
	v_add_f64 v[152:153], v[2:3], v[160:161]
	v_fma_f64 v[2:3], s[24:25], v[20:21], v[28:29]
	v_mul_f64 v[30:31], v[18:19], s[48:49]
	v_add_f64 v[154:155], v[2:3], v[162:163]
	v_mul_f64 v[32:33], v[16:17], s[34:35]
	v_fma_f64 v[2:3], v[14:15], s[34:35], -v[30:31]
	v_add_f64 v[148:149], v[2:3], v[168:169]
	v_fma_f64 v[2:3], s[48:49], v[20:21], v[32:33]
	v_mul_f64 v[168:169], v[16:17], s[6:7]
	v_add_f64 v[150:151], v[2:3], v[188:189]
	v_mul_f64 v[2:3], v[18:19], s[22:23]
	v_fma_f64 v[162:163], s[46:47], v[20:21], v[168:169]
	v_add_f64 v[162:163], v[162:163], v[0:1]
	v_fma_f64 v[0:1], v[14:15], s[6:7], -v[2:3]
	v_add_f64 v[164:165], v[0:1], v[164:165]
	v_mul_f64 v[0:1], v[18:19], s[58:59]
	v_fma_f64 v[160:161], s[6:7], v[14:15], v[2:3]
	v_fmac_f64_e32 v[168:169], s[22:23], v[20:21]
	v_fma_f64 v[2:3], s[0:1], v[14:15], v[0:1]
	v_add_f64 v[166:167], v[168:169], v[166:167]
	v_add_f64 v[168:169], v[2:3], v[34:35]
	v_mul_f64 v[2:3], v[16:17], s[0:1]
	v_fma_f64 v[34:35], s[18:19], v[20:21], v[2:3]
	v_fma_f64 v[0:1], v[14:15], s[0:1], -v[0:1]
	v_fmac_f64_e32 v[2:3], s[58:59], v[20:21]
	v_add_f64 v[160:161], v[160:161], v[182:183]
	v_add_f64 v[170:171], v[34:35], v[170:171]
	;; [unrolled: 1-line block ×4, first 2 shown]
	s_barrier
	s_and_saveexec_b64 s[62:63], s[4:5]
	s_cbranch_execz .LBB0_17
; %bb.16:
	v_accvgpr_write_b32 a99, v71
	v_accvgpr_write_b32 a98, v70
	;; [unrolled: 1-line block ×4, first 2 shown]
	v_mov_b64_e32 v[68:69], v[22:23]
	v_accvgpr_read_b32 v22, a80
	v_mul_f64 v[2:3], v[12:13], s[30:31]
	v_mul_f64 v[34:35], v[232:233], s[26:27]
	v_accvgpr_read_b32 v23, a81
	v_add_f64 v[2:3], v[26:27], -v[2:3]
	v_mul_f64 v[26:27], v[242:243], s[54:55]
	v_add_f64 v[34:35], v[22:23], -v[34:35]
	v_accvgpr_read_b32 v22, a54
	v_add_f64 v[26:27], v[178:179], -v[26:27]
	v_mul_f64 v[178:179], v[224:225], s[44:45]
	v_accvgpr_read_b32 v23, a55
	v_add_f64 v[178:179], v[22:23], -v[178:179]
	v_accvgpr_read_b32 v23, a15
	v_mul_f64 v[188:189], v[210:211], s[24:25]
	v_mul_f64 v[182:183], v[218:219], s[46:47]
	v_accvgpr_read_b32 v22, a14
	v_add_f64 v[188:189], v[198:199], -v[188:189]
	v_add_f64 v[182:183], v[22:23], -v[182:183]
	v_add_f64 v[188:189], v[130:131], v[188:189]
	v_mul_f64 v[0:1], v[20:21], s[48:49]
	v_add_f64 v[182:183], v[182:183], v[188:189]
	v_add_f64 v[0:1], v[32:33], -v[0:1]
	v_mul_f64 v[32:33], v[240:241], s[58:59]
	v_add_f64 v[178:179], v[178:179], v[182:183]
	v_add_f64 v[32:33], v[192:193], -v[32:33]
	v_add_f64 v[34:35], v[34:35], v[178:179]
	v_mul_f64 v[178:179], v[244:245], s[42:43]
	v_accvgpr_read_b32 v22, a88
	v_add_f64 v[32:33], v[32:33], v[34:35]
	v_add_f64 v[176:177], v[178:179], v[176:177]
	v_mul_f64 v[178:179], v[234:235], s[0:1]
	v_accvgpr_read_b32 v23, a89
	v_add_f64 v[26:27], v[26:27], v[32:33]
	v_add_f64 v[178:179], v[178:179], v[22:23]
	v_accvgpr_read_b32 v22, a60
	v_add_f64 v[2:3], v[2:3], v[26:27]
	v_mul_f64 v[26:27], v[14:15], s[34:35]
	v_mul_f64 v[182:183], v[226:227], s[20:21]
	v_accvgpr_read_b32 v23, a61
	v_add_f64 v[26:27], v[26:27], v[30:31]
	v_mul_f64 v[30:31], v[246:247], s[28:29]
	v_add_f64 v[182:183], v[182:183], v[22:23]
	v_accvgpr_read_b32 v22, a52
	v_add_f64 v[30:31], v[30:31], v[184:185]
	v_mul_f64 v[184:185], v[202:203], s[38:39]
	v_accvgpr_read_b32 v23, a53
	v_add_f64 v[184:185], v[184:185], v[22:23]
	v_accvgpr_read_b32 v23, a13
	v_accvgpr_read_b32 v22, a12
	v_mul_f64 v[192:193], v[204:205], s[16:17]
	v_accvgpr_write_b32 a12, v54
	v_mul_f64 v[188:189], v[212:213], s[6:7]
	v_add_f64 v[192:193], v[192:193], v[46:47]
	v_accvgpr_write_b32 a13, v55
	v_accvgpr_write_b32 a14, v56
	;; [unrolled: 1-line block ×4, first 2 shown]
	v_mov_b64_e32 v[58:59], v[6:7]
	v_add_f64 v[188:189], v[188:189], v[22:23]
	v_mov_b64_e32 v[56:57], v[4:5]
	v_add_f64 v[6:7], v[128:129], v[192:193]
	v_add_f64 v[6:7], v[188:189], v[6:7]
	v_add_f64 v[6:7], v[184:185], v[6:7]
	v_add_f64 v[6:7], v[182:183], v[6:7]
	v_add_f64 v[6:7], v[178:179], v[6:7]
	v_add_f64 v[178:179], v[0:1], v[2:3]
	v_mul_f64 v[2:3], v[20:21], s[24:25]
	v_accvgpr_read_b32 v22, a84
	v_add_f64 v[2:3], v[28:29], -v[2:3]
	v_mul_f64 v[28:29], v[240:241], s[30:31]
	v_accvgpr_read_b32 v23, a85
	v_add_f64 v[6:7], v[176:177], v[6:7]
	v_add_f64 v[28:29], v[22:23], -v[28:29]
	v_accvgpr_read_b32 v22, a72
	v_add_f64 v[6:7], v[30:31], v[6:7]
	v_mul_f64 v[30:31], v[232:233], s[40:41]
	v_accvgpr_read_b32 v23, a73
	v_add_f64 v[176:177], v[26:27], v[6:7]
	v_mul_f64 v[6:7], v[12:13], s[44:45]
	v_add_f64 v[30:31], v[22:23], -v[30:31]
	v_accvgpr_read_b32 v22, a56
	v_accvgpr_write_b32 a52, v60
	v_add_f64 v[6:7], v[190:191], -v[6:7]
	v_mul_f64 v[190:191], v[224:225], s[56:57]
	v_accvgpr_read_b32 v23, a57
	v_mul_f64 v[188:189], v[210:211], s[22:23]
	v_accvgpr_write_b32 a53, v61
	v_accvgpr_write_b32 a54, v62
	;; [unrolled: 1-line block ×3, first 2 shown]
	v_mov_b64_e32 v[62:63], v[10:11]
	v_add_f64 v[190:191], v[22:23], -v[190:191]
	v_accvgpr_read_b32 v23, a3
	v_mov_b64_e32 v[60:61], v[8:9]
	v_mul_f64 v[8:9], v[218:219], s[36:37]
	v_accvgpr_read_b32 v22, a2
	v_add_f64 v[188:189], v[50:51], -v[188:189]
	v_add_f64 v[8:9], v[22:23], -v[8:9]
	v_add_f64 v[188:189], v[130:131], v[188:189]
	v_add_f64 v[8:9], v[8:9], v[188:189]
	;; [unrolled: 1-line block ×3, first 2 shown]
	v_mul_f64 v[26:27], v[242:243], s[58:59]
	v_add_f64 v[8:9], v[30:31], v[8:9]
	v_add_f64 v[26:27], v[196:197], -v[26:27]
	v_add_f64 v[8:9], v[28:29], v[8:9]
	v_accvgpr_read_b32 v50, a58
	v_add_f64 v[8:9], v[26:27], v[8:9]
	v_accvgpr_read_b32 v51, a59
	v_accvgpr_write_b32 a56, v64
	v_mul_f64 v[4:5], v[204:205], s[6:7]
	v_mul_f64 v[182:183], v[212:213], s[20:21]
	v_add_f64 v[6:7], v[6:7], v[8:9]
	v_mul_f64 v[8:9], v[14:15], s[16:17]
	v_accvgpr_write_b32 a57, v65
	v_accvgpr_write_b32 a58, v66
	;; [unrolled: 1-line block ×3, first 2 shown]
	v_mov_b64_e32 v[66:67], v[38:39]
	v_add_f64 v[8:9], v[8:9], v[24:25]
	v_mul_f64 v[24:25], v[246:247], s[38:39]
	v_accvgpr_read_b32 v46, a90
	v_mov_b64_e32 v[64:65], v[36:37]
	v_accvgpr_read_b32 v38, a66
	v_mov_b64_e32 v[54:55], v[40:41]
	v_add_f64 v[40:41], v[182:183], v[48:49]
	v_add_f64 v[182:183], v[2:3], v[6:7]
	;; [unrolled: 1-line block ×3, first 2 shown]
	v_mul_f64 v[196:197], v[202:203], s[42:43]
	v_add_f64 v[24:25], v[24:25], v[180:181]
	v_mul_f64 v[180:181], v[244:245], s[0:1]
	v_accvgpr_read_b32 v47, a91
	v_accvgpr_read_b32 v39, a67
	v_add_f64 v[2:3], v[128:129], v[2:3]
	v_mul_f64 v[188:189], v[226:227], s[34:35]
	v_add_f64 v[180:181], v[180:181], v[46:47]
	v_accvgpr_read_b32 v46, a78
	v_add_f64 v[38:39], v[196:197], v[38:39]
	v_add_f64 v[2:3], v[40:41], v[2:3]
	v_mul_f64 v[28:29], v[234:235], s[28:29]
	v_accvgpr_read_b32 v47, a79
	v_add_f64 v[188:189], v[188:189], v[50:51]
	v_add_f64 v[2:3], v[38:39], v[2:3]
	;; [unrolled: 1-line block ×8, first 2 shown]
	v_accvgpr_read_b32 v8, a76
	v_mul_f64 v[32:33], v[210:211], s[18:19]
	v_mul_f64 v[30:31], v[240:241], s[40:41]
	v_accvgpr_read_b32 v9, a77
	v_accvgpr_read_b32 v29, a7
	v_mul_f64 v[192:193], v[218:219], s[30:31]
	v_mul_f64 v[0:1], v[224:225], s[46:47]
	v_add_f64 v[8:9], v[8:9], -v[30:31]
	v_accvgpr_read_b32 v28, a6
	v_add_f64 v[30:31], v[54:55], -v[32:33]
	v_accvgpr_read_b32 v24, a70
	v_add_f64 v[0:1], v[28:29], -v[0:1]
	v_add_f64 v[28:29], v[194:195], -v[192:193]
	v_add_f64 v[30:31], v[130:131], v[30:31]
	v_mul_f64 v[198:199], v[232:233], s[52:53]
	v_accvgpr_read_b32 v25, a71
	v_add_f64 v[28:29], v[28:29], v[30:31]
	v_accvgpr_read_b32 v6, a86
	v_add_f64 v[24:25], v[24:25], -v[198:199]
	v_add_f64 v[0:1], v[0:1], v[28:29]
	v_mul_f64 v[190:191], v[242:243], s[26:27]
	v_accvgpr_read_b32 v7, a87
	v_add_f64 v[0:1], v[24:25], v[0:1]
	v_add_f64 v[6:7], v[6:7], -v[190:191]
	v_add_f64 v[0:1], v[8:9], v[0:1]
	v_add_f64 v[0:1], v[6:7], v[0:1]
	v_accvgpr_read_b32 v6, a74
	v_mul_f64 v[22:23], v[234:235], s[34:35]
	v_accvgpr_read_b32 v7, a75
	v_mul_f64 v[34:35], v[204:205], s[0:1]
	v_mov_b64_e32 v[50:51], v[44:45]
	v_accvgpr_read_b32 v4, a94
	v_add_f64 v[6:7], v[22:23], v[6:7]
	v_accvgpr_read_b32 v23, a5
	v_mul_f64 v[184:185], v[212:213], s[28:29]
	v_mul_f64 v[10:11], v[202:203], s[6:7]
	v_mov_b64_e32 v[46:47], v[52:53]
	v_mul_f64 v[36:37], v[12:13], s[60:61]
	v_accvgpr_read_b32 v5, a95
	v_accvgpr_read_b32 v22, a4
	v_add_f64 v[24:25], v[34:35], v[50:51]
	v_accvgpr_read_b32 v2, a100
	v_add_f64 v[4:5], v[4:5], -v[36:37]
	v_accvgpr_read_b32 v8, a68
	v_add_f64 v[10:11], v[10:11], v[22:23]
	v_add_f64 v[22:23], v[184:185], v[46:47]
	;; [unrolled: 1-line block ×3, first 2 shown]
	v_mul_f64 v[38:39], v[210:211], s[40:41]
	v_accvgpr_write_b32 a2, v186
	v_accvgpr_write_b32 a3, v187
	v_mul_f64 v[186:187], v[226:227], s[38:39]
	v_mul_f64 v[44:45], v[20:21], s[56:57]
	v_accvgpr_read_b32 v3, a101
	v_add_f64 v[0:1], v[4:5], v[0:1]
	v_accvgpr_read_b32 v4, a82
	v_accvgpr_read_b32 v9, a69
	v_add_f64 v[22:23], v[22:23], v[24:25]
	v_mul_f64 v[34:35], v[218:219], s[24:25]
	v_fma_f64 v[40:41], s[34:35], v[206:207], v[38:39]
	v_mul_f64 v[26:27], v[244:245], s[20:21]
	v_mul_f64 v[196:197], v[14:15], s[42:43]
	v_add_f64 v[2:3], v[2:3], -v[44:45]
	v_accvgpr_read_b32 v5, a83
	v_add_f64 v[8:9], v[186:187], v[8:9]
	v_add_f64 v[10:11], v[10:11], v[22:23]
	v_mul_f64 v[30:31], v[224:225], s[50:51]
	v_fma_f64 v[36:37], s[16:17], v[214:215], v[34:35]
	v_add_f64 v[40:41], v[130:131], v[40:41]
	v_mul_f64 v[44:45], v[208:209], s[40:41]
	v_add_f64 v[190:191], v[2:3], v[0:1]
	v_add_f64 v[0:1], v[196:197], v[68:69]
	v_accvgpr_read_b32 v2, a92
	v_add_f64 v[4:5], v[26:27], v[4:5]
	v_add_f64 v[8:9], v[8:9], v[10:11]
	v_mul_f64 v[26:27], v[232:233], s[46:47]
	v_fma_f64 v[32:33], s[28:29], v[220:221], v[30:31]
	v_add_f64 v[36:37], v[36:37], v[40:41]
	v_mul_f64 v[196:197], v[216:217], s[24:25]
	v_fma_f64 v[46:47], v[204:205], s[34:35], -v[44:45]
	v_mul_f64 v[52:53], v[246:247], s[16:17]
	v_accvgpr_read_b32 v3, a93
	v_add_f64 v[6:7], v[6:7], v[8:9]
	v_mul_f64 v[22:23], v[240:241], s[56:57]
	v_fma_f64 v[28:29], s[6:7], v[228:229], v[26:27]
	v_add_f64 v[32:33], v[32:33], v[36:37]
	v_mul_f64 v[192:193], v[222:223], s[50:51]
	v_fma_f64 v[198:199], v[212:213], s[16:17], -v[196:197]
	v_add_f64 v[46:47], v[128:129], v[46:47]
	v_add_f64 v[2:3], v[52:53], v[2:3]
	;; [unrolled: 1-line block ×3, first 2 shown]
	v_mul_f64 v[8:9], v[242:243], s[44:45]
	v_fma_f64 v[24:25], s[42:43], v[236:237], v[22:23]
	v_add_f64 v[28:29], v[28:29], v[32:33]
	v_mul_f64 v[42:43], v[230:231], s[46:47]
	v_fma_f64 v[194:195], v[202:203], s[28:29], -v[192:193]
	v_add_f64 v[46:47], v[198:199], v[46:47]
	v_add_f64 v[2:3], v[2:3], v[4:5]
	v_mul_f64 v[4:5], v[12:13], s[18:19]
	v_fma_f64 v[10:11], s[38:39], v[250:251], v[8:9]
	v_add_f64 v[24:25], v[24:25], v[28:29]
	v_mul_f64 v[36:37], v[238:239], s[56:57]
	v_fma_f64 v[184:185], v[226:227], s[6:7], -v[42:43]
	v_add_f64 v[46:47], v[194:195], v[46:47]
	v_add_f64 v[188:189], v[0:1], v[2:3]
	v_mul_f64 v[0:1], v[20:21], s[26:27]
	v_fma_f64 v[6:7], s[0:1], v[248:249], v[4:5]
	v_add_f64 v[10:11], v[10:11], v[24:25]
	v_mul_f64 v[28:29], v[252:253], s[44:45]
	v_fma_f64 v[40:41], v[234:235], s[42:43], -v[36:37]
	v_add_f64 v[46:47], v[184:185], v[46:47]
	v_fma_f64 v[2:3], s[20:21], v[16:17], v[0:1]
	v_add_f64 v[6:7], v[6:7], v[10:11]
	v_mul_f64 v[10:11], v[254:255], s[18:19]
	v_fma_f64 v[32:33], v[244:245], s[38:39], -v[28:29]
	v_add_f64 v[40:41], v[40:41], v[46:47]
	v_add_f64 v[186:187], v[2:3], v[6:7]
	v_mul_f64 v[2:3], v[18:19], s[26:27]
	v_fma_f64 v[24:25], v[246:247], s[0:1], -v[10:11]
	v_add_f64 v[32:33], v[32:33], v[40:41]
	v_fma_f64 v[6:7], v[14:15], s[20:21], -v[2:3]
	v_add_f64 v[24:25], v[24:25], v[32:33]
	v_add_f64 v[184:185], v[6:7], v[24:25]
	v_fma_f64 v[24:25], v[220:221], s[28:29], -v[30:31]
	v_fma_f64 v[30:31], v[206:207], s[34:35], -v[38:39]
	;; [unrolled: 1-line block ×6, first 2 shown]
	v_add_f64 v[30:31], v[130:131], v[30:31]
	v_add_f64 v[26:27], v[26:27], v[30:31]
	;; [unrolled: 1-line block ×5, first 2 shown]
	v_fma_f64 v[4:5], v[248:249], s[0:1], -v[4:5]
	v_add_f64 v[6:7], v[6:7], v[8:9]
	v_fma_f64 v[0:1], v[16:17], s[20:21], -v[0:1]
	v_add_f64 v[4:5], v[4:5], v[6:7]
	v_fmac_f64_e32 v[44:45], s[34:35], v[204:205]
	v_add_f64 v[198:199], v[0:1], v[4:5]
	v_fmac_f64_e32 v[196:197], s[16:17], v[212:213]
	;; [unrolled: 2-line block ×4, first 2 shown]
	v_add_f64 v[0:1], v[192:193], v[0:1]
	v_mul_f64 v[38:39], v[210:211], s[54:55]
	v_fmac_f64_e32 v[36:37], s[42:43], v[234:235]
	v_add_f64 v[0:1], v[42:43], v[0:1]
	v_mul_f64 v[34:35], v[218:219], s[18:19]
	v_fma_f64 v[40:41], s[42:43], v[206:207], v[38:39]
	v_add_f64 v[0:1], v[36:37], v[0:1]
	v_mul_f64 v[30:31], v[224:225], s[24:25]
	v_fma_f64 v[36:37], s[0:1], v[214:215], v[34:35]
	v_add_f64 v[40:41], v[130:131], v[40:41]
	v_mul_f64 v[52:53], v[208:209], s[54:55]
	v_fmac_f64_e32 v[28:29], s[38:39], v[244:245]
	v_mul_f64 v[26:27], v[232:233], s[30:31]
	v_fma_f64 v[32:33], s[16:17], v[220:221], v[30:31]
	v_add_f64 v[36:37], v[36:37], v[40:41]
	v_mul_f64 v[48:49], v[216:217], s[18:19]
	v_fma_f64 v[54:55], v[204:205], s[42:43], -v[52:53]
	v_add_f64 v[0:1], v[28:29], v[0:1]
	v_mul_f64 v[22:23], v[240:241], s[36:37]
	v_fma_f64 v[28:29], s[28:29], v[228:229], v[26:27]
	v_add_f64 v[32:33], v[32:33], v[36:37]
	v_mul_f64 v[46:47], v[222:223], s[24:25]
	v_fma_f64 v[50:51], v[212:213], s[0:1], -v[48:49]
	v_add_f64 v[54:55], v[128:129], v[54:55]
	v_fmac_f64_e32 v[10:11], s[0:1], v[246:247]
	v_mul_f64 v[8:9], v[242:243], s[46:47]
	v_fma_f64 v[24:25], s[20:21], v[236:237], v[22:23]
	v_add_f64 v[28:29], v[28:29], v[32:33]
	v_mul_f64 v[42:43], v[230:231], s[30:31]
	v_fma_f64 v[192:193], v[202:203], s[16:17], -v[46:47]
	v_add_f64 v[50:51], v[50:51], v[54:55]
	v_fmac_f64_e32 v[2:3], s[20:21], v[14:15]
	v_add_f64 v[0:1], v[10:11], v[0:1]
	v_mul_f64 v[4:5], v[12:13], s[48:49]
	v_fma_f64 v[10:11], s[6:7], v[250:251], v[8:9]
	v_add_f64 v[24:25], v[24:25], v[28:29]
	v_mul_f64 v[36:37], v[238:239], s[36:37]
	v_fma_f64 v[44:45], v[226:227], s[28:29], -v[42:43]
	v_add_f64 v[50:51], v[192:193], v[50:51]
	v_add_f64 v[196:197], v[2:3], v[0:1]
	v_mul_f64 v[0:1], v[20:21], s[52:53]
	v_fma_f64 v[6:7], s[34:35], v[248:249], v[4:5]
	v_add_f64 v[10:11], v[10:11], v[24:25]
	v_mul_f64 v[28:29], v[252:253], s[46:47]
	v_fma_f64 v[40:41], v[234:235], s[20:21], -v[36:37]
	v_add_f64 v[44:45], v[44:45], v[50:51]
	v_fma_f64 v[2:3], s[38:39], v[16:17], v[0:1]
	v_add_f64 v[6:7], v[6:7], v[10:11]
	v_mul_f64 v[10:11], v[254:255], s[48:49]
	v_fma_f64 v[32:33], v[244:245], s[6:7], -v[28:29]
	v_add_f64 v[40:41], v[40:41], v[44:45]
	v_add_f64 v[194:195], v[2:3], v[6:7]
	v_mul_f64 v[2:3], v[18:19], s[52:53]
	v_fma_f64 v[24:25], v[246:247], s[34:35], -v[10:11]
	v_add_f64 v[32:33], v[32:33], v[40:41]
	v_fma_f64 v[6:7], v[14:15], s[38:39], -v[2:3]
	v_add_f64 v[24:25], v[24:25], v[32:33]
	v_add_f64 v[192:193], v[6:7], v[24:25]
	v_fma_f64 v[24:25], v[220:221], s[16:17], -v[30:31]
	v_fma_f64 v[30:31], v[206:207], s[42:43], -v[38:39]
	;; [unrolled: 1-line block ×6, first 2 shown]
	v_add_f64 v[30:31], v[130:131], v[30:31]
	v_add_f64 v[26:27], v[26:27], v[30:31]
	;; [unrolled: 1-line block ×5, first 2 shown]
	v_fma_f64 v[4:5], v[248:249], s[34:35], -v[4:5]
	v_add_f64 v[6:7], v[6:7], v[8:9]
	v_fma_f64 v[0:1], v[16:17], s[38:39], -v[0:1]
	v_add_f64 v[4:5], v[4:5], v[6:7]
	v_fmac_f64_e32 v[52:53], s[42:43], v[204:205]
	v_add_f64 v[24:25], v[0:1], v[4:5]
	v_fmac_f64_e32 v[48:49], s[0:1], v[212:213]
	;; [unrolled: 2-line block ×4, first 2 shown]
	v_add_f64 v[0:1], v[46:47], v[0:1]
	v_mul_f64 v[38:39], v[210:211], s[44:45]
	v_fmac_f64_e32 v[36:37], s[20:21], v[234:235]
	v_add_f64 v[0:1], v[42:43], v[0:1]
	v_mul_f64 v[34:35], v[218:219], s[54:55]
	v_fma_f64 v[40:41], s[38:39], v[206:207], v[38:39]
	v_fmac_f64_e32 v[28:29], s[6:7], v[244:245]
	v_add_f64 v[0:1], v[36:37], v[0:1]
	v_mul_f64 v[30:31], v[224:225], s[40:41]
	v_fma_f64 v[36:37], s[42:43], v[214:215], v[34:35]
	v_add_f64 v[40:41], v[130:131], v[40:41]
	v_mul_f64 v[54:55], v[208:209], s[44:45]
	v_fmac_f64_e32 v[10:11], s[34:35], v[246:247]
	v_add_f64 v[0:1], v[28:29], v[0:1]
	v_mul_f64 v[26:27], v[232:233], s[18:19]
	v_fma_f64 v[32:33], s[34:35], v[220:221], v[30:31]
	v_add_f64 v[36:37], v[36:37], v[40:41]
	v_mul_f64 v[50:51], v[216:217], s[54:55]
	v_fma_f64 v[208:209], v[204:205], s[38:39], -v[54:55]
	v_fmac_f64_e32 v[2:3], s[38:39], v[14:15]
	v_add_f64 v[0:1], v[10:11], v[0:1]
	v_mul_f64 v[4:5], v[12:13], s[26:27]
	v_mul_f64 v[12:13], v[240:241], s[22:23]
	v_fma_f64 v[28:29], s[0:1], v[228:229], v[26:27]
	v_add_f64 v[32:33], v[32:33], v[36:37]
	v_mul_f64 v[46:47], v[222:223], s[40:41]
	v_fma_f64 v[52:53], v[212:213], s[42:43], -v[50:51]
	v_add_f64 v[208:209], v[128:129], v[208:209]
	v_add_f64 v[22:23], v[2:3], v[0:1]
	v_mul_f64 v[0:1], v[20:21], s[30:31]
	v_mul_f64 v[8:9], v[242:243], s[24:25]
	v_fma_f64 v[20:21], s[6:7], v[236:237], v[12:13]
	v_add_f64 v[28:29], v[28:29], v[32:33]
	v_mul_f64 v[42:43], v[230:231], s[18:19]
	v_fma_f64 v[48:49], v[202:203], s[34:35], -v[46:47]
	v_add_f64 v[52:53], v[52:53], v[208:209]
	v_fma_f64 v[10:11], s[16:17], v[250:251], v[8:9]
	v_add_f64 v[20:21], v[20:21], v[28:29]
	v_mul_f64 v[36:37], v[238:239], s[22:23]
	v_fma_f64 v[44:45], v[226:227], s[0:1], -v[42:43]
	v_add_f64 v[48:49], v[48:49], v[52:53]
	;; [unrolled: 5-line block ×4, first 2 shown]
	v_add_f64 v[20:21], v[2:3], v[6:7]
	v_mul_f64 v[2:3], v[18:19], s[30:31]
	v_fma_f64 v[18:19], v[246:247], s[20:21], -v[10:11]
	v_add_f64 v[32:33], v[32:33], v[40:41]
	v_fma_f64 v[6:7], v[14:15], s[28:29], -v[2:3]
	v_add_f64 v[18:19], v[18:19], v[32:33]
	v_fma_f64 v[0:1], v[16:17], s[28:29], -v[0:1]
	v_fma_f64 v[16:17], v[220:221], s[34:35], -v[30:31]
	;; [unrolled: 1-line block ×3, first 2 shown]
	v_add_f64 v[18:19], v[6:7], v[18:19]
	v_fma_f64 v[6:7], v[250:251], s[16:17], -v[8:9]
	v_fma_f64 v[8:9], v[236:237], s[6:7], -v[12:13]
	;; [unrolled: 1-line block ×4, first 2 shown]
	v_add_f64 v[30:31], v[130:131], v[30:31]
	v_add_f64 v[26:27], v[26:27], v[30:31]
	;; [unrolled: 1-line block ×5, first 2 shown]
	v_fma_f64 v[4:5], v[248:249], s[20:21], -v[4:5]
	v_add_f64 v[6:7], v[6:7], v[8:9]
	v_add_f64 v[4:5], v[4:5], v[6:7]
	v_fmac_f64_e32 v[54:55], s[38:39], v[204:205]
	v_add_f64 v[16:17], v[0:1], v[4:5]
	v_fmac_f64_e32 v[50:51], s[42:43], v[212:213]
	;; [unrolled: 2-line block ×8, first 2 shown]
	v_add_f64 v[0:1], v[10:11], v[0:1]
	v_add_f64 v[14:15], v[2:3], v[0:1]
	;; [unrolled: 1-line block ×33, first 2 shown]
	v_accvgpr_read_b32 v4, a1
	v_accvgpr_read_b32 v68, a96
	;; [unrolled: 1-line block ×4, first 2 shown]
	v_add_f64 v[0:1], v[0:1], v[56:57]
	v_accvgpr_read_b32 v57, a15
	v_lshlrev_b32_e32 v4, 4, v4
	v_accvgpr_read_b32 v69, a97
	v_accvgpr_read_b32 v70, a98
	;; [unrolled: 1-line block ×13, first 2 shown]
	ds_write_b128 v4, v[0:3]
	ds_write_b128 v4, v[14:17] offset:16
	ds_write_b128 v4, v[22:25] offset:32
	;; [unrolled: 1-line block ×14, first 2 shown]
	v_accvgpr_read_b32 v187, a3
	v_accvgpr_read_b32 v186, a2
	ds_write_b128 v4, v[192:195] offset:240
	ds_write_b128 v4, v[18:21] offset:256
.LBB0_17:
	s_or_b64 exec, exec, s[62:63]
	s_waitcnt lgkmcnt(0)
	s_barrier
	ds_read_b128 v[0:3], v200
	ds_read_b128 v[104:107], v200 offset:2448
	ds_read_b128 v[100:103], v200 offset:4896
	;; [unrolled: 1-line block ×6, first 2 shown]
	s_and_saveexec_b64 s[0:1], s[2:3]
	s_cbranch_execz .LBB0_19
; %bb.18:
	ds_read_b128 v[160:163], v200 offset:1904
	ds_read_b128 v[168:171], v200 offset:4352
	;; [unrolled: 1-line block ×7, first 2 shown]
.LBB0_19:
	s_or_b64 exec, exec, s[0:1]
	v_accvgpr_read_b32 v16, a40
	v_accvgpr_read_b32 v18, a42
	;; [unrolled: 1-line block ×5, first 2 shown]
	s_waitcnt lgkmcnt(5)
	v_mul_f64 v[12:13], v[18:19], v[106:107]
	v_mul_f64 v[14:15], v[18:19], v[104:105]
	v_accvgpr_read_b32 v22, a34
	v_accvgpr_read_b32 v23, a35
	;; [unrolled: 1-line block ×3, first 2 shown]
	v_fmac_f64_e32 v[12:13], v[16:17], v[104:105]
	v_fma_f64 v[14:15], v[16:17], v[106:107], -v[14:15]
	v_accvgpr_read_b32 v21, a33
	s_waitcnt lgkmcnt(4)
	v_mul_f64 v[16:17], v[22:23], v[102:103]
	v_mul_f64 v[18:19], v[22:23], v[100:101]
	v_accvgpr_read_b32 v26, a38
	v_accvgpr_read_b32 v27, a39
	;; [unrolled: 1-line block ×3, first 2 shown]
	v_fmac_f64_e32 v[16:17], v[20:21], v[100:101]
	v_fma_f64 v[18:19], v[20:21], v[102:103], -v[18:19]
	v_accvgpr_read_b32 v25, a37
	s_waitcnt lgkmcnt(3)
	v_mul_f64 v[20:21], v[26:27], v[98:99]
	v_mul_f64 v[22:23], v[26:27], v[96:97]
	v_accvgpr_read_b32 v30, a30
	v_accvgpr_read_b32 v31, a31
	v_fmac_f64_e32 v[20:21], v[24:25], v[96:97]
	v_fma_f64 v[22:23], v[24:25], v[98:99], -v[22:23]
	s_waitcnt lgkmcnt(2)
	v_mul_f64 v[24:25], v[30:31], v[94:95]
	v_mul_f64 v[26:27], v[30:31], v[92:93]
	v_accvgpr_read_b32 v30, a48
	v_accvgpr_read_b32 v29, a29
	v_accvgpr_read_b32 v32, a50
	v_accvgpr_read_b32 v33, a51
	v_fmac_f64_e32 v[24:25], v[28:29], v[92:93]
	v_fma_f64 v[26:27], v[28:29], v[94:95], -v[26:27]
	v_accvgpr_read_b32 v31, a49
	s_waitcnt lgkmcnt(1)
	v_mul_f64 v[28:29], v[32:33], v[10:11]
	v_fmac_f64_e32 v[28:29], v[30:31], v[8:9]
	v_mul_f64 v[8:9], v[32:33], v[8:9]
	v_fma_f64 v[8:9], v[30:31], v[10:11], -v[8:9]
	v_accvgpr_read_b32 v30, a44
	v_accvgpr_read_b32 v32, a46
	v_accvgpr_read_b32 v33, a47
	v_accvgpr_read_b32 v31, a45
	s_waitcnt lgkmcnt(0)
	v_mul_f64 v[10:11], v[32:33], v[6:7]
	v_fmac_f64_e32 v[10:11], v[30:31], v[4:5]
	v_mul_f64 v[4:5], v[32:33], v[4:5]
	v_fma_f64 v[4:5], v[30:31], v[6:7], -v[4:5]
	v_add_f64 v[6:7], v[12:13], v[10:11]
	v_add_f64 v[10:11], v[12:13], -v[10:11]
	v_add_f64 v[12:13], v[16:17], v[28:29]
	v_add_f64 v[30:31], v[14:15], v[4:5]
	v_add_f64 v[4:5], v[14:15], -v[4:5]
	v_add_f64 v[14:15], v[18:19], v[8:9]
	v_add_f64 v[8:9], v[18:19], -v[8:9]
	;; [unrolled: 2-line block ×6, first 2 shown]
	v_add_f64 v[6:7], v[6:7], -v[18:19]
	v_add_f64 v[12:13], v[18:19], -v[12:13]
	v_add_f64 v[18:19], v[18:19], v[24:25]
	v_add_f64 v[24:25], v[28:29], v[26:27]
	;; [unrolled: 1-line block ×3, first 2 shown]
	s_mov_b32 s16, 0x37e14327
	s_mov_b32 s18, 0x36b3c0b5
	;; [unrolled: 1-line block ×5, first 2 shown]
	v_add_f64 v[34:35], v[14:15], -v[30:31]
	v_add_f64 v[30:31], v[30:31], -v[28:29]
	;; [unrolled: 1-line block ×3, first 2 shown]
	v_add_f64 v[36:37], v[20:21], v[16:17]
	v_add_f64 v[38:39], v[22:23], v[8:9]
	v_add_f64 v[40:41], v[20:21], -v[16:17]
	v_add_f64 v[42:43], v[22:23], -v[8:9]
	;; [unrolled: 1-line block ×4, first 2 shown]
	v_add_f64 v[2:3], v[2:3], v[24:25]
	s_mov_b32 s17, 0x3fe948f6
	s_mov_b32 s19, 0x3fac98ee
	;; [unrolled: 1-line block ×5, first 2 shown]
	v_mov_b64_e32 v[44:45], v[0:1]
	s_mov_b32 s6, 0x5476071b
	s_mov_b32 s30, 0xb247c609
	v_add_f64 v[20:21], v[10:11], -v[20:21]
	v_add_f64 v[22:23], v[4:5], -v[22:23]
	v_add_f64 v[10:11], v[36:37], v[10:11]
	v_add_f64 v[4:5], v[38:39], v[4:5]
	v_mul_f64 v[6:7], v[6:7], s[16:17]
	v_mul_f64 v[26:27], v[30:31], s[16:17]
	;; [unrolled: 1-line block ×8, first 2 shown]
	v_fmac_f64_e32 v[44:45], s[28:29], v[18:19]
	v_mov_b64_e32 v[18:19], v[2:3]
	s_mov_b32 s7, 0x3fe77f67
	s_mov_b32 s23, 0xbfe77f67
	;; [unrolled: 1-line block ×7, first 2 shown]
	v_fmac_f64_e32 v[18:19], s[28:29], v[24:25]
	v_fma_f64 v[24:25], v[32:33], s[6:7], -v[28:29]
	v_fma_f64 v[28:29], v[34:35], s[6:7], -v[30:31]
	v_fma_f64 v[30:31], v[32:33], s[22:23], -v[6:7]
	v_fmac_f64_e32 v[6:7], s[18:19], v[12:13]
	v_fma_f64 v[12:13], v[34:35], s[22:23], -v[26:27]
	v_fmac_f64_e32 v[26:27], s[18:19], v[14:15]
	v_fma_f64 v[32:33], v[16:17], s[0:1], -v[36:37]
	;; [unrolled: 2-line block ×4, first 2 shown]
	v_fma_f64 v[20:21], v[22:23], s[26:27], -v[42:43]
	s_mov_b32 s25, 0xbfdc38aa
	v_add_f64 v[40:41], v[6:7], v[44:45]
	v_add_f64 v[26:27], v[26:27], v[18:19]
	;; [unrolled: 1-line block ×6, first 2 shown]
	v_fmac_f64_e32 v[36:37], s[24:25], v[10:11]
	v_fmac_f64_e32 v[38:39], s[24:25], v[4:5]
	;; [unrolled: 1-line block ×6, first 2 shown]
	v_add_f64 v[4:5], v[38:39], v[40:41]
	v_add_f64 v[6:7], v[26:27], -v[36:37]
	v_add_f64 v[8:9], v[20:21], v[28:29]
	v_add_f64 v[10:11], v[30:31], -v[34:35]
	v_add_f64 v[12:13], v[22:23], -v[16:17]
	v_add_f64 v[14:15], v[32:33], v[24:25]
	v_add_f64 v[16:17], v[16:17], v[22:23]
	v_add_f64 v[18:19], v[24:25], -v[32:33]
	v_add_f64 v[20:21], v[28:29], -v[20:21]
	v_add_f64 v[22:23], v[34:35], v[30:31]
	v_add_f64 v[24:25], v[40:41], -v[38:39]
	v_add_f64 v[26:27], v[36:37], v[26:27]
	s_barrier
	ds_write_b128 v58, v[0:3]
	ds_write_b128 v58, v[4:7] offset:272
	ds_write_b128 v58, v[8:11] offset:544
	;; [unrolled: 1-line block ×6, first 2 shown]
	s_and_saveexec_b64 s[34:35], s[2:3]
	s_cbranch_execz .LBB0_21
; %bb.20:
	v_accvgpr_read_b32 v33, a19
	v_accvgpr_read_b32 v41, a27
	;; [unrolled: 1-line block ×13, first 2 shown]
	v_mul_f64 v[0:1], v[32:33], v[170:171]
	v_accvgpr_read_b32 v39, a25
	v_accvgpr_read_b32 v38, a24
	v_mul_f64 v[4:5], v[40:41], v[158:159]
	v_accvgpr_read_b32 v47, a63
	v_mul_f64 v[10:11], v[48:49], v[150:151]
	v_accvgpr_read_b32 v43, a9
	v_accvgpr_read_b32 v42, a8
	v_mul_f64 v[12:13], v[44:45], v[166:167]
	v_mul_f64 v[16:17], v[56:57], v[174:175]
	v_accvgpr_read_b32 v35, a21
	v_accvgpr_read_b32 v34, a20
	v_mul_f64 v[18:19], v[36:37], v[154:155]
	v_fmac_f64_e32 v[0:1], v[30:31], v[168:169]
	v_fmac_f64_e32 v[4:5], v[38:39], v[156:157]
	;; [unrolled: 1-line block ×6, first 2 shown]
	v_add_f64 v[8:9], v[0:1], -v[4:5]
	v_add_f64 v[2:3], v[10:11], -v[12:13]
	;; [unrolled: 1-line block ×5, first 2 shown]
	v_add_f64 v[2:3], v[2:3], v[20:21]
	v_add_f64 v[26:27], v[2:3], v[8:9]
	v_mul_f64 v[2:3], v[40:41], v[156:157]
	v_fma_f64 v[28:29], v[38:39], v[158:159], -v[2:3]
	v_mul_f64 v[2:3], v[32:33], v[168:169]
	v_fma_f64 v[30:31], v[30:31], v[170:171], -v[2:3]
	v_mul_f64 v[2:3], v[36:37], v[152:153]
	v_mul_f64 v[22:23], v[6:7], s[20:21]
	v_fma_f64 v[34:35], v[34:35], v[154:155], -v[2:3]
	v_mul_f64 v[2:3], v[56:57], v[172:173]
	v_mul_f64 v[6:7], v[44:45], v[164:165]
	v_fma_f64 v[36:37], v[54:55], v[174:175], -v[2:3]
	v_fma_f64 v[40:41], v[42:43], v[166:167], -v[6:7]
	v_mul_f64 v[6:7], v[48:49], v[148:149]
	v_add_f64 v[32:33], v[30:31], v[28:29]
	v_add_f64 v[38:39], v[36:37], v[34:35]
	v_fma_f64 v[42:43], v[46:47], v[150:151], -v[6:7]
	v_add_f64 v[52:53], v[0:1], v[4:5]
	v_add_f64 v[16:17], v[16:17], v[18:19]
	;; [unrolled: 1-line block ×10, first 2 shown]
	v_mov_b64_e32 v[46:47], v[2:3]
	v_mov_b64_e32 v[12:13], v[0:1]
	v_add_f64 v[20:21], v[20:21], -v[8:9]
	v_fmac_f64_e32 v[46:47], s[28:29], v[44:45]
	v_add_f64 v[44:45], v[32:33], -v[6:7]
	v_fmac_f64_e32 v[12:13], s[28:29], v[10:11]
	v_add_f64 v[10:11], v[52:53], -v[4:5]
	v_mul_f64 v[8:9], v[20:21], s[0:1]
	v_fma_f64 v[24:25], s[30:31], v[14:15], v[22:23]
	v_mul_f64 v[44:45], v[44:45], s[16:17]
	v_mul_f64 v[18:19], v[10:11], s[16:17]
	v_add_f64 v[4:5], v[4:5], -v[16:17]
	v_fma_f64 v[58:59], v[14:15], s[26:27], -v[8:9]
	v_add_f64 v[14:15], v[38:39], -v[32:33]
	v_mul_f64 v[54:55], v[4:5], s[18:19]
	v_fma_f64 v[4:5], s[18:19], v[4:5], v[18:19]
	v_add_f64 v[28:29], v[30:31], -v[28:29]
	v_add_f64 v[34:35], v[36:37], -v[34:35]
	v_fma_f64 v[8:9], v[14:15], s[22:23], -v[44:45]
	v_add_f64 v[16:17], v[16:17], -v[52:53]
	v_add_f64 v[6:7], v[6:7], -v[38:39]
	v_add_f64 v[56:57], v[4:5], v[12:13]
	v_add_f64 v[4:5], v[42:43], -v[40:41]
	v_add_f64 v[32:33], v[8:9], v[46:47]
	v_fma_f64 v[8:9], v[16:17], s[22:23], -v[18:19]
	v_add_f64 v[18:19], v[34:35], -v[28:29]
	v_mul_f64 v[48:49], v[6:7], s[18:19]
	v_add_f64 v[30:31], v[28:29], -v[4:5]
	v_add_f64 v[10:11], v[4:5], -v[34:35]
	v_add_f64 v[4:5], v[4:5], v[34:35]
	v_add_f64 v[38:39], v[8:9], v[12:13]
	v_mul_f64 v[8:9], v[18:19], s[0:1]
	v_mul_f64 v[36:37], v[10:11], s[20:21]
	v_add_f64 v[42:43], v[4:5], v[28:29]
	v_fma_f64 v[28:29], v[30:31], s[26:27], -v[8:9]
	v_fma_f64 v[14:15], v[14:15], s[6:7], -v[48:49]
	;; [unrolled: 1-line block ×3, first 2 shown]
	v_fma_f64 v[40:41], s[30:31], v[30:31], v[36:37]
	v_fmac_f64_e32 v[28:29], s[24:25], v[42:43]
	v_add_f64 v[30:31], v[14:15], v[46:47]
	v_fmac_f64_e32 v[20:21], s[24:25], v[26:27]
	v_fma_f64 v[6:7], s[18:19], v[6:7], v[44:45]
	v_add_f64 v[8:9], v[38:39], -v[28:29]
	v_add_f64 v[14:15], v[30:31], -v[20:21]
	v_fma_f64 v[16:17], v[16:17], s[6:7], -v[54:55]
	v_fma_f64 v[22:23], v[18:19], s[0:1], -v[36:37]
	v_add_f64 v[18:19], v[20:21], v[30:31]
	v_add_f64 v[20:21], v[28:29], v[38:39]
	v_mul_u32_u24_e32 v28, 0x77, v186
	v_fmac_f64_e32 v[24:25], s[24:25], v[26:27]
	v_add_f64 v[50:51], v[6:7], v[46:47]
	v_fmac_f64_e32 v[40:41], s[24:25], v[42:43]
	v_fmac_f64_e32 v[58:59], s[24:25], v[26:27]
	v_add_f64 v[16:17], v[16:17], v[12:13]
	v_fmac_f64_e32 v[22:23], s[24:25], v[42:43]
	v_add_lshl_u32 v28, v28, v187, 4
	v_add_f64 v[6:7], v[24:25], v[50:51]
	v_add_f64 v[4:5], v[56:57], -v[40:41]
	v_add_f64 v[10:11], v[58:59], v[32:33]
	v_add_f64 v[12:13], v[22:23], v[16:17]
	v_add_f64 v[16:17], v[16:17], -v[22:23]
	v_add_f64 v[22:23], v[32:33], -v[58:59]
	;; [unrolled: 1-line block ×3, first 2 shown]
	v_add_f64 v[24:25], v[40:41], v[56:57]
	ds_write_b128 v28, v[0:3]
	ds_write_b128 v28, v[24:27] offset:272
	ds_write_b128 v28, v[20:23] offset:544
	;; [unrolled: 1-line block ×6, first 2 shown]
.LBB0_21:
	s_or_b64 exec, exec, s[34:35]
	s_waitcnt lgkmcnt(0)
	s_barrier
	ds_read_b128 v[0:3], v200
	ds_read_b128 v[4:7], v200 offset:1904
	ds_read_b128 v[8:11], v200 offset:3808
	;; [unrolled: 1-line block ×8, first 2 shown]
	s_waitcnt lgkmcnt(7)
	v_mul_f64 v[36:37], v[74:75], v[6:7]
	v_fmac_f64_e32 v[36:37], v[72:73], v[4:5]
	v_mul_f64 v[4:5], v[74:75], v[4:5]
	v_fma_f64 v[4:5], v[72:73], v[6:7], -v[4:5]
	s_waitcnt lgkmcnt(6)
	v_mul_f64 v[6:7], v[70:71], v[10:11]
	v_fmac_f64_e32 v[6:7], v[68:69], v[8:9]
	v_mul_f64 v[8:9], v[70:71], v[8:9]
	v_fma_f64 v[8:9], v[68:69], v[10:11], -v[8:9]
	;; [unrolled: 5-line block ×3, first 2 shown]
	s_waitcnt lgkmcnt(4)
	v_mul_f64 v[14:15], v[62:63], v[16:17]
	v_fma_f64 v[40:41], v[60:61], v[18:19], -v[14:15]
	s_waitcnt lgkmcnt(3)
	v_mul_f64 v[14:15], v[90:91], v[20:21]
	v_mul_f64 v[38:39], v[62:63], v[18:19]
	v_fma_f64 v[44:45], v[88:89], v[22:23], -v[14:15]
	s_waitcnt lgkmcnt(2)
	v_mul_f64 v[14:15], v[86:87], v[26:27]
	v_fmac_f64_e32 v[38:39], v[60:61], v[16:17]
	v_mul_f64 v[42:43], v[90:91], v[22:23]
	v_fmac_f64_e32 v[14:15], v[84:85], v[24:25]
	v_mul_f64 v[16:17], v[86:87], v[24:25]
	s_waitcnt lgkmcnt(0)
	v_mul_f64 v[22:23], v[78:79], v[34:35]
	v_mul_f64 v[24:25], v[78:79], v[32:33]
	v_fmac_f64_e32 v[42:43], v[88:89], v[20:21]
	v_mul_f64 v[18:19], v[82:83], v[30:31]
	v_mul_f64 v[20:21], v[82:83], v[28:29]
	v_fmac_f64_e32 v[22:23], v[76:77], v[32:33]
	v_fma_f64 v[24:25], v[76:77], v[34:35], -v[24:25]
	s_mov_b32 s16, 0xa2cf5039
	v_fmac_f64_e32 v[18:19], v[80:81], v[28:29]
	v_fma_f64 v[20:21], v[80:81], v[30:31], -v[20:21]
	v_add_f64 v[32:33], v[36:37], v[22:23]
	v_add_f64 v[30:31], v[4:5], -v[24:25]
	s_mov_b32 s1, 0x3fe491b7
	s_mov_b32 s0, 0x523c161c
	;; [unrolled: 1-line block ×5, first 2 shown]
	v_fma_f64 v[16:17], v[84:85], v[26:27], -v[16:17]
	v_add_f64 v[34:35], v[4:5], v[24:25]
	v_add_f64 v[46:47], v[6:7], v[18:19]
	;; [unrolled: 1-line block ×3, first 2 shown]
	v_add_f64 v[28:29], v[36:37], -v[22:23]
	v_add_f64 v[54:55], v[8:9], -v[20:21]
	;; [unrolled: 1-line block ×3, first 2 shown]
	v_mul_f64 v[10:11], v[30:31], s[0:1]
	s_mov_b32 s3, 0x3fef838b
	s_mov_b32 s6, 0xe8584cab
	v_fma_f64 v[4:5], s[16:17], v[32:33], v[0:1]
	s_mov_b32 s19, 0x3fc63a1a
	v_add_f64 v[48:49], v[8:9], v[20:21]
	v_add_f64 v[52:53], v[12:13], v[16:17]
	v_add_f64 v[36:37], v[6:7], -v[18:19]
	v_add_f64 v[58:59], v[12:13], -v[16:17]
	v_mul_f64 v[12:13], v[28:29], s[0:1]
	v_fmac_f64_e32 v[10:11], s[2:3], v[54:55]
	s_mov_b32 s7, 0x3febb67a
	s_mov_b32 s20, 0x748a0bf8
	v_fma_f64 v[6:7], s[16:17], v[34:35], v[2:3]
	v_fmac_f64_e32 v[4:5], s[18:19], v[46:47]
	s_mov_b32 s22, 0x42522d1b
	v_fmac_f64_e32 v[12:13], s[2:3], v[36:37]
	v_fmac_f64_e32 v[10:11], s[6:7], v[58:59]
	v_add_f64 v[62:63], v[40:41], -v[44:45]
	s_mov_b32 s21, 0x3fd5e3a8
	v_fmac_f64_e32 v[6:7], s[18:19], v[48:49]
	v_fmac_f64_e32 v[4:5], -0.5, v[50:51]
	v_add_f64 v[64:65], v[38:39], v[42:43]
	s_mov_b32 s23, 0xbfee11f6
	v_fmac_f64_e32 v[12:13], s[6:7], v[56:57]
	v_add_f64 v[60:61], v[38:39], -v[42:43]
	v_fmac_f64_e32 v[10:11], s[20:21], v[62:63]
	v_fmac_f64_e32 v[6:7], -0.5, v[52:53]
	v_add_f64 v[66:67], v[40:41], v[44:45]
	v_fmac_f64_e32 v[4:5], s[22:23], v[64:65]
	v_fmac_f64_e32 v[12:13], s[20:21], v[60:61]
	v_fmac_f64_e32 v[6:7], s[22:23], v[66:67]
	v_add_f64 v[4:5], v[4:5], -v[10:11]
	v_add_f64 v[6:7], v[12:13], v[6:7]
	v_mov_b64_e32 v[8:9], v[4:5]
	v_fmac_f64_e32 v[8:9], 2.0, v[10:11]
	v_mov_b64_e32 v[10:11], v[6:7]
	s_mov_b32 s1, 0xbfe491b7
	v_fmac_f64_e32 v[10:11], -2.0, v[12:13]
	v_mul_f64 v[18:19], v[62:63], s[0:1]
	v_fma_f64 v[12:13], s[16:17], v[64:65], v[0:1]
	v_mul_f64 v[20:21], v[60:61], s[0:1]
	v_fmac_f64_e32 v[18:19], s[2:3], v[30:31]
	s_mov_b32 s25, 0xbfebb67a
	s_mov_b32 s24, s6
	v_fma_f64 v[14:15], s[16:17], v[66:67], v[2:3]
	v_fmac_f64_e32 v[12:13], s[18:19], v[32:33]
	v_fmac_f64_e32 v[20:21], s[2:3], v[28:29]
	v_fmac_f64_e32 v[18:19], s[24:25], v[58:59]
	v_fmac_f64_e32 v[14:15], s[18:19], v[34:35]
	v_fmac_f64_e32 v[12:13], -0.5, v[50:51]
	v_fmac_f64_e32 v[20:21], s[24:25], v[56:57]
	v_fmac_f64_e32 v[18:19], s[20:21], v[54:55]
	v_fmac_f64_e32 v[14:15], -0.5, v[52:53]
	v_fmac_f64_e32 v[12:13], s[22:23], v[46:47]
	v_fmac_f64_e32 v[20:21], s[20:21], v[36:37]
	;; [unrolled: 1-line block ×3, first 2 shown]
	v_add_f64 v[12:13], v[12:13], -v[18:19]
	v_add_f64 v[14:15], v[20:21], v[14:15]
	v_mov_b64_e32 v[16:17], v[12:13]
	v_fmac_f64_e32 v[16:17], 2.0, v[18:19]
	v_mov_b64_e32 v[18:19], v[14:15]
	v_fmac_f64_e32 v[18:19], -2.0, v[20:21]
	v_add_f64 v[20:21], v[60:61], v[28:29]
	v_add_f64 v[22:23], v[62:63], v[30:31]
	v_mul_f64 v[60:61], v[60:61], s[2:3]
	v_mul_f64 v[62:63], v[62:63], s[2:3]
	v_add_f64 v[24:25], v[20:21], -v[36:37]
	v_add_f64 v[26:27], v[22:23], -v[54:55]
	v_fma_f64 v[36:37], v[36:37], s[0:1], -v[60:61]
	v_fma_f64 v[54:55], v[54:55], s[0:1], -v[62:63]
	v_add_f64 v[72:73], v[46:47], v[32:33]
	v_add_f64 v[74:75], v[48:49], v[34:35]
	v_fmac_f64_e32 v[36:37], s[6:7], v[56:57]
	v_fmac_f64_e32 v[54:55], s[6:7], v[58:59]
	;; [unrolled: 1-line block ×4, first 2 shown]
	v_add_f64 v[28:29], v[50:51], v[72:73]
	v_add_f64 v[30:31], v[52:53], v[74:75]
	;; [unrolled: 1-line block ×10, first 2 shown]
	v_fmac_f64_e32 v[0:1], s[16:17], v[46:47]
	v_fmac_f64_e32 v[2:3], s[16:17], v[48:49]
	;; [unrolled: 1-line block ×4, first 2 shown]
	v_add_f64 v[76:77], v[64:65], v[72:73]
	v_add_f64 v[78:79], v[66:67], v[74:75]
	v_fmac_f64_e32 v[0:1], -0.5, v[50:51]
	v_fmac_f64_e32 v[2:3], -0.5, v[52:53]
	;; [unrolled: 1-line block ×4, first 2 shown]
	v_fmac_f64_e32 v[0:1], s[22:23], v[32:33]
	v_fmac_f64_e32 v[2:3], s[22:23], v[34:35]
	;; [unrolled: 1-line block ×4, first 2 shown]
	v_add_f64 v[0:1], v[0:1], -v[54:55]
	v_add_f64 v[2:3], v[36:37], v[2:3]
	v_mul_f64 v[68:69], v[24:25], s[6:7]
	v_mul_f64 v[70:71], v[26:27], s[6:7]
	v_mov_b64_e32 v[24:25], v[20:21]
	v_mov_b64_e32 v[26:27], v[22:23]
	;; [unrolled: 1-line block ×4, first 2 shown]
	v_fmac_f64_e32 v[24:25], 2.0, v[70:71]
	v_fmac_f64_e32 v[26:27], -2.0, v[68:69]
	v_fmac_f64_e32 v[32:33], 2.0, v[54:55]
	v_fmac_f64_e32 v[34:35], -2.0, v[36:37]
	ds_write_b128 v200, v[28:31]
	ds_write_b128 v200, v[4:7] offset:1904
	ds_write_b128 v200, v[12:15] offset:3808
	;; [unrolled: 1-line block ×8, first 2 shown]
	s_waitcnt lgkmcnt(0)
	s_barrier
	s_and_b64 exec, exec, s[4:5]
	s_cbranch_execz .LBB0_23
; %bb.22:
	global_load_dwordx4 v[0:3], v200, s[12:13]
	v_accvgpr_read_b32 v26, a0
	v_mad_u64_u32 v[14:15], s[0:1], s10, v26, 0
	ds_read_b128 v[4:7], v200
	ds_read_b128 v[8:11], v200 offset:1008
	ds_read_b128 v[18:21], v200 offset:16128
	v_mov_b32_e32 v22, v15
	v_mad_u64_u32 v[16:17], s[2:3], s8, v201, 0
	v_mad_u64_u32 v[22:23], s[2:3], s11, v26, v[22:23]
	v_mov_b32_e32 v12, s14
	v_mov_b32_e32 v13, s15
	;; [unrolled: 1-line block ×4, first 2 shown]
	s_mov_b32 s0, 0x1e98801f
	v_mad_u64_u32 v[24:25], s[2:3], s9, v201, v[24:25]
	v_lshl_add_u64 v[12:13], v[14:15], 4, v[12:13]
	s_mov_b32 s1, 0x3f4e9880
	v_mov_b32_e32 v17, v24
	v_lshl_add_u64 v[12:13], v[16:17], 4, v[12:13]
	v_mov_b32_e32 v24, 0x3f0
	s_mul_i32 s2, s9, 0x3f0
	v_mov_b32_e32 v201, 0
	s_movk_i32 s3, 0x1000
	s_waitcnt vmcnt(0) lgkmcnt(2)
	v_mul_f64 v[14:15], v[6:7], v[2:3]
	v_mul_f64 v[2:3], v[4:5], v[2:3]
	v_fmac_f64_e32 v[14:15], v[4:5], v[0:1]
	v_fma_f64 v[2:3], v[0:1], v[6:7], -v[2:3]
	v_mul_f64 v[0:1], v[14:15], s[0:1]
	v_mul_f64 v[2:3], v[2:3], s[0:1]
	global_store_dwordx4 v[12:13], v[0:3], off
	global_load_dwordx4 v[0:3], v200, s[12:13] offset:1008
	v_mad_u64_u32 v[12:13], s[4:5], s8, v24, v[12:13]
	v_add_u32_e32 v13, s2, v13
	s_waitcnt vmcnt(0) lgkmcnt(1)
	v_mul_f64 v[4:5], v[10:11], v[2:3]
	v_mul_f64 v[2:3], v[8:9], v[2:3]
	v_fmac_f64_e32 v[4:5], v[8:9], v[0:1]
	v_fma_f64 v[2:3], v[0:1], v[10:11], -v[2:3]
	v_mul_f64 v[0:1], v[4:5], s[0:1]
	v_mul_f64 v[2:3], v[2:3], s[0:1]
	global_store_dwordx4 v[12:13], v[0:3], off
	global_load_dwordx4 v[0:3], v200, s[12:13] offset:2016
	ds_read_b128 v[4:7], v200 offset:2016
	ds_read_b128 v[8:11], v200 offset:3024
	v_mad_u64_u32 v[12:13], s[4:5], s8, v24, v[12:13]
	v_add_u32_e32 v13, s2, v13
	s_waitcnt vmcnt(0) lgkmcnt(1)
	v_mul_f64 v[14:15], v[6:7], v[2:3]
	v_mul_f64 v[2:3], v[4:5], v[2:3]
	v_fmac_f64_e32 v[14:15], v[4:5], v[0:1]
	v_fma_f64 v[2:3], v[0:1], v[6:7], -v[2:3]
	v_mul_f64 v[0:1], v[14:15], s[0:1]
	v_mul_f64 v[2:3], v[2:3], s[0:1]
	global_store_dwordx4 v[12:13], v[0:3], off
	global_load_dwordx4 v[0:3], v200, s[12:13] offset:3024
	v_mad_u64_u32 v[12:13], s[4:5], s8, v24, v[12:13]
	v_add_u32_e32 v13, s2, v13
	v_lshl_add_u64 v[14:15], s[12:13], 0, v[200:201]
	v_add_co_u32_e32 v16, vcc, s3, v14
	s_movk_i32 s3, 0x2000
	s_nop 0
	v_addc_co_u32_e32 v17, vcc, 0, v15, vcc
	s_waitcnt vmcnt(0) lgkmcnt(0)
	v_mul_f64 v[4:5], v[10:11], v[2:3]
	v_mul_f64 v[2:3], v[8:9], v[2:3]
	v_fmac_f64_e32 v[4:5], v[8:9], v[0:1]
	v_fma_f64 v[2:3], v[0:1], v[10:11], -v[2:3]
	v_mul_f64 v[0:1], v[4:5], s[0:1]
	v_mul_f64 v[2:3], v[2:3], s[0:1]
	global_store_dwordx4 v[12:13], v[0:3], off
	global_load_dwordx4 v[0:3], v200, s[12:13] offset:4032
	ds_read_b128 v[4:7], v200 offset:4032
	ds_read_b128 v[8:11], v200 offset:5040
	v_mad_u64_u32 v[12:13], s[4:5], s8, v24, v[12:13]
	v_add_u32_e32 v13, s2, v13
	s_waitcnt vmcnt(0) lgkmcnt(1)
	v_mul_f64 v[22:23], v[6:7], v[2:3]
	v_mul_f64 v[2:3], v[4:5], v[2:3]
	v_fmac_f64_e32 v[22:23], v[4:5], v[0:1]
	v_fma_f64 v[2:3], v[0:1], v[6:7], -v[2:3]
	v_mul_f64 v[0:1], v[22:23], s[0:1]
	v_mul_f64 v[2:3], v[2:3], s[0:1]
	global_store_dwordx4 v[12:13], v[0:3], off
	global_load_dwordx4 v[0:3], v[16:17], off offset:944
	v_mad_u64_u32 v[12:13], s[4:5], s8, v24, v[12:13]
	v_add_u32_e32 v13, s2, v13
	s_waitcnt vmcnt(0) lgkmcnt(0)
	v_mul_f64 v[4:5], v[10:11], v[2:3]
	v_mul_f64 v[2:3], v[8:9], v[2:3]
	v_fmac_f64_e32 v[4:5], v[8:9], v[0:1]
	v_fma_f64 v[2:3], v[0:1], v[10:11], -v[2:3]
	v_mul_f64 v[0:1], v[4:5], s[0:1]
	v_mul_f64 v[2:3], v[2:3], s[0:1]
	global_store_dwordx4 v[12:13], v[0:3], off
	global_load_dwordx4 v[0:3], v[16:17], off offset:1952
	ds_read_b128 v[4:7], v200 offset:6048
	ds_read_b128 v[8:11], v200 offset:7056
	v_mad_u64_u32 v[12:13], s[4:5], s8, v24, v[12:13]
	v_add_u32_e32 v13, s2, v13
	s_waitcnt vmcnt(0) lgkmcnt(1)
	v_mul_f64 v[22:23], v[6:7], v[2:3]
	v_mul_f64 v[2:3], v[4:5], v[2:3]
	v_fmac_f64_e32 v[22:23], v[4:5], v[0:1]
	v_fma_f64 v[2:3], v[0:1], v[6:7], -v[2:3]
	v_mul_f64 v[0:1], v[22:23], s[0:1]
	v_mul_f64 v[2:3], v[2:3], s[0:1]
	global_store_dwordx4 v[12:13], v[0:3], off
	global_load_dwordx4 v[0:3], v[16:17], off offset:2960
	v_mad_u64_u32 v[12:13], s[4:5], s8, v24, v[12:13]
	v_add_u32_e32 v13, s2, v13
	s_waitcnt vmcnt(0) lgkmcnt(0)
	v_mul_f64 v[4:5], v[10:11], v[2:3]
	v_mul_f64 v[2:3], v[8:9], v[2:3]
	v_fmac_f64_e32 v[4:5], v[8:9], v[0:1]
	v_fma_f64 v[2:3], v[0:1], v[10:11], -v[2:3]
	v_mul_f64 v[0:1], v[4:5], s[0:1]
	v_mul_f64 v[2:3], v[2:3], s[0:1]
	global_store_dwordx4 v[12:13], v[0:3], off
	global_load_dwordx4 v[0:3], v[16:17], off offset:3968
	ds_read_b128 v[4:7], v200 offset:8064
	ds_read_b128 v[8:11], v200 offset:9072
	v_mad_u64_u32 v[12:13], s[4:5], s8, v24, v[12:13]
	v_add_co_u32_e32 v16, vcc, s3, v14
	v_add_u32_e32 v13, s2, v13
	s_nop 0
	v_addc_co_u32_e32 v17, vcc, 0, v15, vcc
	s_movk_i32 s3, 0x3000
	v_add_co_u32_e32 v14, vcc, s3, v14
	s_waitcnt vmcnt(0) lgkmcnt(1)
	v_mul_f64 v[22:23], v[6:7], v[2:3]
	v_mul_f64 v[2:3], v[4:5], v[2:3]
	v_fmac_f64_e32 v[22:23], v[4:5], v[0:1]
	v_fma_f64 v[2:3], v[0:1], v[6:7], -v[2:3]
	v_mul_f64 v[0:1], v[22:23], s[0:1]
	v_mul_f64 v[2:3], v[2:3], s[0:1]
	global_store_dwordx4 v[12:13], v[0:3], off
	global_load_dwordx4 v[0:3], v[16:17], off offset:880
	v_mad_u64_u32 v[12:13], s[4:5], s8, v24, v[12:13]
	v_add_u32_e32 v13, s2, v13
	v_addc_co_u32_e32 v15, vcc, 0, v15, vcc
	s_waitcnt vmcnt(0) lgkmcnt(0)
	v_mul_f64 v[4:5], v[10:11], v[2:3]
	v_mul_f64 v[2:3], v[8:9], v[2:3]
	v_fmac_f64_e32 v[4:5], v[8:9], v[0:1]
	v_fma_f64 v[2:3], v[0:1], v[10:11], -v[2:3]
	v_mul_f64 v[0:1], v[4:5], s[0:1]
	v_mul_f64 v[2:3], v[2:3], s[0:1]
	global_store_dwordx4 v[12:13], v[0:3], off
	global_load_dwordx4 v[0:3], v[16:17], off offset:1888
	ds_read_b128 v[4:7], v200 offset:10080
	ds_read_b128 v[8:11], v200 offset:11088
	v_mad_u64_u32 v[12:13], s[4:5], s8, v24, v[12:13]
	v_add_u32_e32 v13, s2, v13
	s_waitcnt vmcnt(0) lgkmcnt(1)
	v_mul_f64 v[22:23], v[6:7], v[2:3]
	v_mul_f64 v[2:3], v[4:5], v[2:3]
	v_fmac_f64_e32 v[22:23], v[4:5], v[0:1]
	v_fma_f64 v[2:3], v[0:1], v[6:7], -v[2:3]
	v_mul_f64 v[0:1], v[22:23], s[0:1]
	v_mul_f64 v[2:3], v[2:3], s[0:1]
	global_store_dwordx4 v[12:13], v[0:3], off
	global_load_dwordx4 v[0:3], v[16:17], off offset:2896
	v_mad_u64_u32 v[12:13], s[4:5], s8, v24, v[12:13]
	v_add_u32_e32 v13, s2, v13
	s_waitcnt vmcnt(0) lgkmcnt(0)
	v_mul_f64 v[4:5], v[10:11], v[2:3]
	v_mul_f64 v[2:3], v[8:9], v[2:3]
	v_fmac_f64_e32 v[4:5], v[8:9], v[0:1]
	v_fma_f64 v[2:3], v[0:1], v[10:11], -v[2:3]
	v_mul_f64 v[0:1], v[4:5], s[0:1]
	v_mul_f64 v[2:3], v[2:3], s[0:1]
	global_store_dwordx4 v[12:13], v[0:3], off
	global_load_dwordx4 v[0:3], v[16:17], off offset:3904
	ds_read_b128 v[4:7], v200 offset:12096
	ds_read_b128 v[8:11], v200 offset:13104
	v_mad_u64_u32 v[12:13], s[4:5], s8, v24, v[12:13]
	v_add_u32_e32 v13, s2, v13
	s_waitcnt vmcnt(0) lgkmcnt(1)
	v_mul_f64 v[16:17], v[6:7], v[2:3]
	v_mul_f64 v[2:3], v[4:5], v[2:3]
	v_fmac_f64_e32 v[16:17], v[4:5], v[0:1]
	v_fma_f64 v[2:3], v[0:1], v[6:7], -v[2:3]
	v_mul_f64 v[0:1], v[16:17], s[0:1]
	v_mul_f64 v[2:3], v[2:3], s[0:1]
	global_store_dwordx4 v[12:13], v[0:3], off
	global_load_dwordx4 v[0:3], v[14:15], off offset:816
	v_mad_u64_u32 v[12:13], s[4:5], s8, v24, v[12:13]
	v_add_u32_e32 v13, s2, v13
	s_waitcnt vmcnt(0) lgkmcnt(0)
	v_mul_f64 v[4:5], v[10:11], v[2:3]
	v_mul_f64 v[2:3], v[8:9], v[2:3]
	v_fmac_f64_e32 v[4:5], v[8:9], v[0:1]
	v_fma_f64 v[2:3], v[0:1], v[10:11], -v[2:3]
	v_mul_f64 v[0:1], v[4:5], s[0:1]
	v_mul_f64 v[2:3], v[2:3], s[0:1]
	global_store_dwordx4 v[12:13], v[0:3], off
	global_load_dwordx4 v[0:3], v[14:15], off offset:1824
	ds_read_b128 v[4:7], v200 offset:14112
	ds_read_b128 v[8:11], v200 offset:15120
	v_mad_u64_u32 v[12:13], s[4:5], s8, v24, v[12:13]
	v_add_u32_e32 v13, s2, v13
	s_waitcnt vmcnt(0) lgkmcnt(1)
	v_mul_f64 v[16:17], v[6:7], v[2:3]
	v_mul_f64 v[2:3], v[4:5], v[2:3]
	v_fmac_f64_e32 v[16:17], v[4:5], v[0:1]
	v_fma_f64 v[2:3], v[0:1], v[6:7], -v[2:3]
	v_mul_f64 v[0:1], v[16:17], s[0:1]
	v_mul_f64 v[2:3], v[2:3], s[0:1]
	global_store_dwordx4 v[12:13], v[0:3], off
	global_load_dwordx4 v[0:3], v[14:15], off offset:2832
	v_mad_u64_u32 v[4:5], s[4:5], s8, v24, v[12:13]
	v_add_u32_e32 v5, s2, v5
	s_waitcnt vmcnt(0) lgkmcnt(0)
	v_mul_f64 v[6:7], v[10:11], v[2:3]
	v_mul_f64 v[2:3], v[8:9], v[2:3]
	v_fmac_f64_e32 v[6:7], v[8:9], v[0:1]
	v_fma_f64 v[2:3], v[0:1], v[10:11], -v[2:3]
	v_mul_f64 v[0:1], v[6:7], s[0:1]
	v_mul_f64 v[2:3], v[2:3], s[0:1]
	global_store_dwordx4 v[4:5], v[0:3], off
	global_load_dwordx4 v[0:3], v[14:15], off offset:3840
	v_mad_u64_u32 v[4:5], s[4:5], s8, v24, v[4:5]
	v_add_u32_e32 v5, s2, v5
	s_waitcnt vmcnt(0)
	v_mul_f64 v[6:7], v[20:21], v[2:3]
	v_mul_f64 v[2:3], v[18:19], v[2:3]
	v_fmac_f64_e32 v[6:7], v[18:19], v[0:1]
	v_fma_f64 v[2:3], v[0:1], v[20:21], -v[2:3]
	v_mul_f64 v[0:1], v[6:7], s[0:1]
	v_mul_f64 v[2:3], v[2:3], s[0:1]
	global_store_dwordx4 v[4:5], v[0:3], off
.LBB0_23:
	s_endpgm
	.section	.rodata,"a",@progbits
	.p2align	6, 0x0
	.amdhsa_kernel bluestein_single_fwd_len1071_dim1_dp_op_CI_CI
		.amdhsa_group_segment_fixed_size 17136
		.amdhsa_private_segment_fixed_size 0
		.amdhsa_kernarg_size 104
		.amdhsa_user_sgpr_count 2
		.amdhsa_user_sgpr_dispatch_ptr 0
		.amdhsa_user_sgpr_queue_ptr 0
		.amdhsa_user_sgpr_kernarg_segment_ptr 1
		.amdhsa_user_sgpr_dispatch_id 0
		.amdhsa_user_sgpr_kernarg_preload_length 0
		.amdhsa_user_sgpr_kernarg_preload_offset 0
		.amdhsa_user_sgpr_private_segment_size 0
		.amdhsa_uses_dynamic_stack 0
		.amdhsa_enable_private_segment 0
		.amdhsa_system_sgpr_workgroup_id_x 1
		.amdhsa_system_sgpr_workgroup_id_y 0
		.amdhsa_system_sgpr_workgroup_id_z 0
		.amdhsa_system_sgpr_workgroup_info 0
		.amdhsa_system_vgpr_workitem_id 0
		.amdhsa_next_free_vgpr 358
		.amdhsa_next_free_sgpr 64
		.amdhsa_accum_offset 256
		.amdhsa_reserve_vcc 1
		.amdhsa_float_round_mode_32 0
		.amdhsa_float_round_mode_16_64 0
		.amdhsa_float_denorm_mode_32 3
		.amdhsa_float_denorm_mode_16_64 3
		.amdhsa_dx10_clamp 1
		.amdhsa_ieee_mode 1
		.amdhsa_fp16_overflow 0
		.amdhsa_tg_split 0
		.amdhsa_exception_fp_ieee_invalid_op 0
		.amdhsa_exception_fp_denorm_src 0
		.amdhsa_exception_fp_ieee_div_zero 0
		.amdhsa_exception_fp_ieee_overflow 0
		.amdhsa_exception_fp_ieee_underflow 0
		.amdhsa_exception_fp_ieee_inexact 0
		.amdhsa_exception_int_div_zero 0
	.end_amdhsa_kernel
	.text
.Lfunc_end0:
	.size	bluestein_single_fwd_len1071_dim1_dp_op_CI_CI, .Lfunc_end0-bluestein_single_fwd_len1071_dim1_dp_op_CI_CI
                                        ; -- End function
	.section	.AMDGPU.csdata,"",@progbits
; Kernel info:
; codeLenInByte = 27736
; NumSgprs: 70
; NumVgprs: 256
; NumAgprs: 102
; TotalNumVgprs: 358
; ScratchSize: 0
; MemoryBound: 0
; FloatMode: 240
; IeeeMode: 1
; LDSByteSize: 17136 bytes/workgroup (compile time only)
; SGPRBlocks: 8
; VGPRBlocks: 44
; NumSGPRsForWavesPerEU: 70
; NumVGPRsForWavesPerEU: 358
; AccumOffset: 256
; Occupancy: 1
; WaveLimiterHint : 1
; COMPUTE_PGM_RSRC2:SCRATCH_EN: 0
; COMPUTE_PGM_RSRC2:USER_SGPR: 2
; COMPUTE_PGM_RSRC2:TRAP_HANDLER: 0
; COMPUTE_PGM_RSRC2:TGID_X_EN: 1
; COMPUTE_PGM_RSRC2:TGID_Y_EN: 0
; COMPUTE_PGM_RSRC2:TGID_Z_EN: 0
; COMPUTE_PGM_RSRC2:TIDIG_COMP_CNT: 0
; COMPUTE_PGM_RSRC3_GFX90A:ACCUM_OFFSET: 63
; COMPUTE_PGM_RSRC3_GFX90A:TG_SPLIT: 0
	.text
	.p2alignl 6, 3212836864
	.fill 256, 4, 3212836864
	.type	__hip_cuid_b1f0def92ab3e081,@object ; @__hip_cuid_b1f0def92ab3e081
	.section	.bss,"aw",@nobits
	.globl	__hip_cuid_b1f0def92ab3e081
__hip_cuid_b1f0def92ab3e081:
	.byte	0                               ; 0x0
	.size	__hip_cuid_b1f0def92ab3e081, 1

	.ident	"AMD clang version 19.0.0git (https://github.com/RadeonOpenCompute/llvm-project roc-6.4.0 25133 c7fe45cf4b819c5991fe208aaa96edf142730f1d)"
	.section	".note.GNU-stack","",@progbits
	.addrsig
	.addrsig_sym __hip_cuid_b1f0def92ab3e081
	.amdgpu_metadata
---
amdhsa.kernels:
  - .agpr_count:     102
    .args:
      - .actual_access:  read_only
        .address_space:  global
        .offset:         0
        .size:           8
        .value_kind:     global_buffer
      - .actual_access:  read_only
        .address_space:  global
        .offset:         8
        .size:           8
        .value_kind:     global_buffer
      - .actual_access:  read_only
        .address_space:  global
        .offset:         16
        .size:           8
        .value_kind:     global_buffer
      - .actual_access:  read_only
        .address_space:  global
        .offset:         24
        .size:           8
        .value_kind:     global_buffer
      - .actual_access:  read_only
        .address_space:  global
        .offset:         32
        .size:           8
        .value_kind:     global_buffer
      - .offset:         40
        .size:           8
        .value_kind:     by_value
      - .address_space:  global
        .offset:         48
        .size:           8
        .value_kind:     global_buffer
      - .address_space:  global
        .offset:         56
        .size:           8
        .value_kind:     global_buffer
      - .address_space:  global
        .offset:         64
        .size:           8
        .value_kind:     global_buffer
      - .address_space:  global
        .offset:         72
        .size:           8
        .value_kind:     global_buffer
      - .offset:         80
        .size:           4
        .value_kind:     by_value
      - .address_space:  global
        .offset:         88
        .size:           8
        .value_kind:     global_buffer
      - .address_space:  global
        .offset:         96
        .size:           8
        .value_kind:     global_buffer
    .group_segment_fixed_size: 17136
    .kernarg_segment_align: 8
    .kernarg_segment_size: 104
    .language:       OpenCL C
    .language_version:
      - 2
      - 0
    .max_flat_workgroup_size: 119
    .name:           bluestein_single_fwd_len1071_dim1_dp_op_CI_CI
    .private_segment_fixed_size: 0
    .sgpr_count:     70
    .sgpr_spill_count: 0
    .symbol:         bluestein_single_fwd_len1071_dim1_dp_op_CI_CI.kd
    .uniform_work_group_size: 1
    .uses_dynamic_stack: false
    .vgpr_count:     358
    .vgpr_spill_count: 0
    .wavefront_size: 64
amdhsa.target:   amdgcn-amd-amdhsa--gfx950
amdhsa.version:
  - 1
  - 2
...

	.end_amdgpu_metadata
